;; amdgpu-corpus repo=ROCm/rocFFT kind=compiled arch=gfx906 opt=O3
	.text
	.amdgcn_target "amdgcn-amd-amdhsa--gfx906"
	.amdhsa_code_object_version 6
	.protected	fft_rtc_fwd_len2040_factors_17_4_3_10_wgs_170_tpt_170_halfLds_dp_ip_CI_unitstride_sbrr_dirReg ; -- Begin function fft_rtc_fwd_len2040_factors_17_4_3_10_wgs_170_tpt_170_halfLds_dp_ip_CI_unitstride_sbrr_dirReg
	.globl	fft_rtc_fwd_len2040_factors_17_4_3_10_wgs_170_tpt_170_halfLds_dp_ip_CI_unitstride_sbrr_dirReg
	.p2align	8
	.type	fft_rtc_fwd_len2040_factors_17_4_3_10_wgs_170_tpt_170_halfLds_dp_ip_CI_unitstride_sbrr_dirReg,@function
fft_rtc_fwd_len2040_factors_17_4_3_10_wgs_170_tpt_170_halfLds_dp_ip_CI_unitstride_sbrr_dirReg: ; @fft_rtc_fwd_len2040_factors_17_4_3_10_wgs_170_tpt_170_halfLds_dp_ip_CI_unitstride_sbrr_dirReg
; %bb.0:
	s_mov_b64 s[62:63], s[2:3]
	s_mov_b64 s[60:61], s[0:1]
	s_load_dwordx2 s[12:13], s[4:5], 0x50
	s_load_dwordx4 s[8:11], s[4:5], 0x0
	s_load_dwordx2 s[2:3], s[4:5], 0x18
	v_mul_u32_u24_e32 v1, 0x182, v0
	s_add_u32 s60, s60, s7
	v_add_u32_sdwa v5, s6, v1 dst_sel:DWORD dst_unused:UNUSED_PAD src0_sel:DWORD src1_sel:WORD_1
	s_waitcnt lgkmcnt(0)
	v_cmp_lt_u64_e64 s[0:1], s[10:11], 2
	v_mov_b32_e32 v3, 0
	v_mov_b32_e32 v1, 0
	s_addc_u32 s61, s61, 0
	v_mov_b32_e32 v6, v3
	s_and_b64 vcc, exec, s[0:1]
	v_mov_b32_e32 v2, 0
	s_cbranch_vccnz .LBB0_8
; %bb.1:
	s_load_dwordx2 s[0:1], s[4:5], 0x10
	s_add_u32 s6, s2, 8
	s_addc_u32 s7, s3, 0
	v_mov_b32_e32 v1, 0
	v_mov_b32_e32 v2, 0
	s_waitcnt lgkmcnt(0)
	s_add_u32 s14, s0, 8
	s_addc_u32 s15, s1, 0
	s_mov_b64 s[16:17], 1
.LBB0_2:                                ; =>This Inner Loop Header: Depth=1
	s_load_dwordx2 s[18:19], s[14:15], 0x0
                                        ; implicit-def: $vgpr7_vgpr8
	s_waitcnt lgkmcnt(0)
	v_or_b32_e32 v4, s19, v6
	v_cmp_ne_u64_e32 vcc, 0, v[3:4]
	s_and_saveexec_b64 s[0:1], vcc
	s_xor_b64 s[20:21], exec, s[0:1]
	s_cbranch_execz .LBB0_4
; %bb.3:                                ;   in Loop: Header=BB0_2 Depth=1
	v_cvt_f32_u32_e32 v4, s18
	v_cvt_f32_u32_e32 v7, s19
	s_sub_u32 s0, 0, s18
	s_subb_u32 s1, 0, s19
	v_mac_f32_e32 v4, 0x4f800000, v7
	v_rcp_f32_e32 v4, v4
	v_mul_f32_e32 v4, 0x5f7ffffc, v4
	v_mul_f32_e32 v7, 0x2f800000, v4
	v_trunc_f32_e32 v7, v7
	v_mac_f32_e32 v4, 0xcf800000, v7
	v_cvt_u32_f32_e32 v7, v7
	v_cvt_u32_f32_e32 v4, v4
	v_mul_lo_u32 v8, s0, v7
	v_mul_hi_u32 v9, s0, v4
	v_mul_lo_u32 v11, s1, v4
	v_mul_lo_u32 v10, s0, v4
	v_add_u32_e32 v8, v9, v8
	v_add_u32_e32 v8, v8, v11
	v_mul_hi_u32 v9, v4, v10
	v_mul_lo_u32 v11, v4, v8
	v_mul_hi_u32 v13, v4, v8
	v_mul_hi_u32 v12, v7, v10
	v_mul_lo_u32 v10, v7, v10
	v_mul_hi_u32 v14, v7, v8
	v_add_co_u32_e32 v9, vcc, v9, v11
	v_addc_co_u32_e32 v11, vcc, 0, v13, vcc
	v_mul_lo_u32 v8, v7, v8
	v_add_co_u32_e32 v9, vcc, v9, v10
	v_addc_co_u32_e32 v9, vcc, v11, v12, vcc
	v_addc_co_u32_e32 v10, vcc, 0, v14, vcc
	v_add_co_u32_e32 v8, vcc, v9, v8
	v_addc_co_u32_e32 v9, vcc, 0, v10, vcc
	v_add_co_u32_e32 v4, vcc, v4, v8
	v_addc_co_u32_e32 v7, vcc, v7, v9, vcc
	v_mul_lo_u32 v8, s0, v7
	v_mul_hi_u32 v9, s0, v4
	v_mul_lo_u32 v10, s1, v4
	v_mul_lo_u32 v11, s0, v4
	v_add_u32_e32 v8, v9, v8
	v_add_u32_e32 v8, v8, v10
	v_mul_lo_u32 v12, v4, v8
	v_mul_hi_u32 v13, v4, v11
	v_mul_hi_u32 v14, v4, v8
	v_mul_hi_u32 v10, v7, v11
	v_mul_lo_u32 v11, v7, v11
	v_mul_hi_u32 v9, v7, v8
	v_add_co_u32_e32 v12, vcc, v13, v12
	v_addc_co_u32_e32 v13, vcc, 0, v14, vcc
	v_mul_lo_u32 v8, v7, v8
	v_add_co_u32_e32 v11, vcc, v12, v11
	v_addc_co_u32_e32 v10, vcc, v13, v10, vcc
	v_addc_co_u32_e32 v9, vcc, 0, v9, vcc
	v_add_co_u32_e32 v8, vcc, v10, v8
	v_addc_co_u32_e32 v9, vcc, 0, v9, vcc
	v_add_co_u32_e32 v4, vcc, v4, v8
	v_addc_co_u32_e32 v9, vcc, v7, v9, vcc
	v_mad_u64_u32 v[7:8], s[0:1], v5, v9, 0
	v_mul_hi_u32 v10, v5, v4
	v_add_co_u32_e32 v11, vcc, v10, v7
	v_addc_co_u32_e32 v12, vcc, 0, v8, vcc
	v_mad_u64_u32 v[7:8], s[0:1], v6, v4, 0
	v_mad_u64_u32 v[9:10], s[0:1], v6, v9, 0
	v_add_co_u32_e32 v4, vcc, v11, v7
	v_addc_co_u32_e32 v4, vcc, v12, v8, vcc
	v_addc_co_u32_e32 v7, vcc, 0, v10, vcc
	v_add_co_u32_e32 v4, vcc, v4, v9
	v_addc_co_u32_e32 v9, vcc, 0, v7, vcc
	v_mul_lo_u32 v10, s19, v4
	v_mul_lo_u32 v11, s18, v9
	v_mad_u64_u32 v[7:8], s[0:1], s18, v4, 0
	v_add3_u32 v8, v8, v11, v10
	v_sub_u32_e32 v10, v6, v8
	v_mov_b32_e32 v11, s19
	v_sub_co_u32_e32 v7, vcc, v5, v7
	v_subb_co_u32_e64 v10, s[0:1], v10, v11, vcc
	v_subrev_co_u32_e64 v11, s[0:1], s18, v7
	v_subbrev_co_u32_e64 v10, s[0:1], 0, v10, s[0:1]
	v_cmp_le_u32_e64 s[0:1], s19, v10
	v_cndmask_b32_e64 v12, 0, -1, s[0:1]
	v_cmp_le_u32_e64 s[0:1], s18, v11
	v_cndmask_b32_e64 v11, 0, -1, s[0:1]
	v_cmp_eq_u32_e64 s[0:1], s19, v10
	v_cndmask_b32_e64 v10, v12, v11, s[0:1]
	v_add_co_u32_e64 v11, s[0:1], 2, v4
	v_addc_co_u32_e64 v12, s[0:1], 0, v9, s[0:1]
	v_add_co_u32_e64 v13, s[0:1], 1, v4
	v_addc_co_u32_e64 v14, s[0:1], 0, v9, s[0:1]
	v_subb_co_u32_e32 v8, vcc, v6, v8, vcc
	v_cmp_ne_u32_e64 s[0:1], 0, v10
	v_cmp_le_u32_e32 vcc, s19, v8
	v_cndmask_b32_e64 v10, v14, v12, s[0:1]
	v_cndmask_b32_e64 v12, 0, -1, vcc
	v_cmp_le_u32_e32 vcc, s18, v7
	v_cndmask_b32_e64 v7, 0, -1, vcc
	v_cmp_eq_u32_e32 vcc, s19, v8
	v_cndmask_b32_e32 v7, v12, v7, vcc
	v_cmp_ne_u32_e32 vcc, 0, v7
	v_cndmask_b32_e64 v7, v13, v11, s[0:1]
	v_cndmask_b32_e32 v8, v9, v10, vcc
	v_cndmask_b32_e32 v7, v4, v7, vcc
.LBB0_4:                                ;   in Loop: Header=BB0_2 Depth=1
	s_andn2_saveexec_b64 s[0:1], s[20:21]
	s_cbranch_execz .LBB0_6
; %bb.5:                                ;   in Loop: Header=BB0_2 Depth=1
	v_cvt_f32_u32_e32 v4, s18
	s_sub_i32 s20, 0, s18
	v_rcp_iflag_f32_e32 v4, v4
	v_mul_f32_e32 v4, 0x4f7ffffe, v4
	v_cvt_u32_f32_e32 v4, v4
	v_mul_lo_u32 v7, s20, v4
	v_mul_hi_u32 v7, v4, v7
	v_add_u32_e32 v4, v4, v7
	v_mul_hi_u32 v4, v5, v4
	v_mul_lo_u32 v7, v4, s18
	v_add_u32_e32 v8, 1, v4
	v_sub_u32_e32 v7, v5, v7
	v_subrev_u32_e32 v9, s18, v7
	v_cmp_le_u32_e32 vcc, s18, v7
	v_cndmask_b32_e32 v7, v7, v9, vcc
	v_cndmask_b32_e32 v4, v4, v8, vcc
	v_add_u32_e32 v8, 1, v4
	v_cmp_le_u32_e32 vcc, s18, v7
	v_cndmask_b32_e32 v7, v4, v8, vcc
	v_mov_b32_e32 v8, v3
.LBB0_6:                                ;   in Loop: Header=BB0_2 Depth=1
	s_or_b64 exec, exec, s[0:1]
	v_mul_lo_u32 v4, v8, s18
	v_mul_lo_u32 v11, v7, s19
	v_mad_u64_u32 v[9:10], s[0:1], v7, s18, 0
	s_load_dwordx2 s[0:1], s[6:7], 0x0
	s_add_u32 s16, s16, 1
	v_add3_u32 v4, v10, v11, v4
	v_sub_co_u32_e32 v5, vcc, v5, v9
	v_subb_co_u32_e32 v4, vcc, v6, v4, vcc
	s_waitcnt lgkmcnt(0)
	v_mul_lo_u32 v4, s0, v4
	v_mul_lo_u32 v6, s1, v5
	v_mad_u64_u32 v[1:2], s[0:1], s0, v5, v[1:2]
	s_addc_u32 s17, s17, 0
	s_add_u32 s6, s6, 8
	v_add3_u32 v2, v6, v2, v4
	v_mov_b32_e32 v4, s10
	v_mov_b32_e32 v5, s11
	s_addc_u32 s7, s7, 0
	v_cmp_ge_u64_e32 vcc, s[16:17], v[4:5]
	s_add_u32 s14, s14, 8
	s_addc_u32 s15, s15, 0
	s_cbranch_vccnz .LBB0_9
; %bb.7:                                ;   in Loop: Header=BB0_2 Depth=1
	v_mov_b32_e32 v5, v7
	v_mov_b32_e32 v6, v8
	s_branch .LBB0_2
.LBB0_8:
	v_mov_b32_e32 v8, v6
	v_mov_b32_e32 v7, v5
.LBB0_9:
	s_lshl_b64 s[0:1], s[10:11], 3
	s_add_u32 s0, s2, s0
	s_addc_u32 s1, s3, s1
	s_load_dwordx2 s[2:3], s[0:1], 0x0
	s_load_dwordx2 s[6:7], s[4:5], 0x20
                                        ; implicit-def: $vgpr40_vgpr41
                                        ; implicit-def: $vgpr76_vgpr77
                                        ; implicit-def: $vgpr72_vgpr73
                                        ; implicit-def: $vgpr64_vgpr65
                                        ; implicit-def: $vgpr56_vgpr57
                                        ; implicit-def: $vgpr48_vgpr49
                                        ; implicit-def: $vgpr24_vgpr25
                                        ; implicit-def: $vgpr28_vgpr29
                                        ; implicit-def: $vgpr32_vgpr33
                                        ; implicit-def: $vgpr36_vgpr37
                                        ; implicit-def: $vgpr44_vgpr45
                                        ; implicit-def: $vgpr52_vgpr53
                                        ; implicit-def: $vgpr60_vgpr61
                                        ; implicit-def: $vgpr68_vgpr69
                                        ; implicit-def: $vgpr80_vgpr81
                                        ; implicit-def: $vgpr84_vgpr85
                                        ; implicit-def: $vgpr14_vgpr15
	s_waitcnt lgkmcnt(0)
	v_mad_u64_u32 v[1:2], s[0:1], s2, v7, v[1:2]
	s_mov_b32 s0, 0x1818182
	v_mul_lo_u32 v3, s2, v8
	v_mul_lo_u32 v4, s3, v7
	v_mul_hi_u32 v5, v0, s0
	v_cmp_gt_u64_e32 vcc, s[6:7], v[7:8]
	s_movk_i32 s0, 0x78
	v_add3_u32 v2, v4, v2, v3
	v_mul_u32_u24_e32 v3, 0xaa, v5
	v_sub_u32_e32 v110, v0, v3
	v_cmp_gt_u32_e64 s[0:1], s0, v110
	v_lshlrev_b64 v[252:253], 4, v[1:2]
	s_and_b64 s[2:3], vcc, s[0:1]
	s_and_saveexec_b64 s[4:5], s[2:3]
	s_cbranch_execz .LBB0_11
; %bb.10:
	v_mov_b32_e32 v111, 0
	v_mov_b32_e32 v0, s13
	v_add_co_u32_e64 v22, s[2:3], s12, v252
	v_addc_co_u32_e64 v23, s[2:3], v0, v253, s[2:3]
	v_lshlrev_b64 v[0:1], 4, v[110:111]
	v_or_b32_e32 v20, 0x780, v110
	v_add_co_u32_e64 v0, s[2:3], v22, v0
	v_addc_co_u32_e64 v1, s[2:3], v23, v1, s[2:3]
	s_movk_i32 s2, 0x1000
	v_add_co_u32_e64 v2, s[2:3], s2, v0
	v_addc_co_u32_e64 v3, s[2:3], 0, v1, s[2:3]
	s_movk_i32 s2, 0x2000
	v_add_co_u32_e64 v4, s[2:3], s2, v0
	v_addc_co_u32_e64 v5, s[2:3], 0, v1, s[2:3]
	s_movk_i32 s2, 0x3000
	v_add_co_u32_e64 v6, s[2:3], s2, v0
	v_addc_co_u32_e64 v7, s[2:3], 0, v1, s[2:3]
	s_movk_i32 s2, 0x4000
	v_add_co_u32_e64 v8, s[2:3], s2, v0
	v_addc_co_u32_e64 v9, s[2:3], 0, v1, s[2:3]
	s_movk_i32 s2, 0x5000
	v_add_co_u32_e64 v10, s[2:3], s2, v0
	v_addc_co_u32_e64 v11, s[2:3], 0, v1, s[2:3]
	s_movk_i32 s2, 0x6000
	v_add_co_u32_e64 v16, s[2:3], s2, v0
	v_addc_co_u32_e64 v17, s[2:3], 0, v1, s[2:3]
	s_movk_i32 s2, 0x7000
	v_mov_b32_e32 v21, v111
	v_add_co_u32_e64 v18, s[2:3], s2, v0
	v_lshlrev_b64 v[20:21], 4, v[20:21]
	v_addc_co_u32_e64 v19, s[2:3], 0, v1, s[2:3]
	v_add_co_u32_e64 v20, s[2:3], v22, v20
	global_load_dwordx4 v[12:15], v[0:1], off
	global_load_dwordx4 v[38:41], v[0:1], off offset:1920
	v_addc_co_u32_e64 v21, s[2:3], v23, v21, s[2:3]
	global_load_dwordx4 v[74:77], v[0:1], off offset:3840
	global_load_dwordx4 v[82:85], v[2:3], off offset:1664
	;; [unrolled: 1-line block ×14, first 2 shown]
	global_load_dwordx4 v[22:25], v[20:21], off
.LBB0_11:
	s_or_b64 exec, exec, s[4:5]
	s_waitcnt vmcnt(0)
	v_add_f64 v[88:89], v[38:39], v[22:23]
	s_mov_b32 s2, 0x75d4884
	s_mov_b32 s10, 0x2b2883cd
	;; [unrolled: 1-line block ×4, first 2 shown]
	v_add_f64 v[118:119], v[40:41], -v[24:25]
	v_add_f64 v[100:101], v[74:75], v[26:27]
	s_mov_b32 s34, 0x2a9d6da3
	v_mul_f64 v[10:11], v[88:89], s[2:3]
	v_mul_f64 v[18:19], v[88:89], s[10:11]
	s_mov_b32 s4, 0x3259b75e
	s_mov_b32 s26, 0x7c9e640b
	;; [unrolled: 1-line block ×7, first 2 shown]
	v_add_f64 v[126:127], v[76:77], -v[28:29]
	v_mul_f64 v[16:17], v[100:101], s[4:5]
	v_fma_f64 v[0:1], v[118:119], s[34:35], v[10:11]
	v_add_f64 v[120:121], v[30:31], v[82:83]
	v_fma_f64 v[4:5], v[118:119], s[26:27], v[18:19]
	v_mul_f64 v[86:87], v[100:101], s[6:7]
	s_mov_b32 s22, 0xeb564b22
	s_mov_b32 s24, 0x6c9a05f6
	;; [unrolled: 1-line block ×6, first 2 shown]
	v_fma_f64 v[2:3], v[126:127], s[22:23], v[16:17]
	v_add_f64 v[0:1], v[0:1], v[12:13]
	v_add_f64 v[138:139], v[84:85], -v[32:33]
	v_mul_f64 v[20:21], v[120:121], s[6:7]
	v_add_f64 v[4:5], v[4:5], v[12:13]
	v_add_f64 v[102:103], v[34:35], v[78:79]
	v_fma_f64 v[6:7], v[126:127], s[24:25], v[86:87]
	v_mul_f64 v[92:93], v[120:121], s[14:15]
	s_mov_b32 s28, 0xacd6c6b4
	s_mov_b32 s18, 0xc61f0d01
	;; [unrolled: 1-line block ×6, first 2 shown]
	v_add_f64 v[0:1], v[2:3], v[0:1]
	v_fma_f64 v[2:3], v[138:139], s[24:25], v[20:21]
	v_add_f64 v[140:141], v[80:81], -v[36:37]
	v_mul_f64 v[90:91], v[102:103], s[14:15]
	v_add_f64 v[4:5], v[6:7], v[4:5]
	v_fma_f64 v[6:7], v[138:139], s[42:43], v[92:93]
	v_add_f64 v[108:109], v[70:71], v[42:43]
	v_mul_f64 v[96:97], v[102:103], s[18:19]
	s_mov_b32 s16, 0x910ea3b9
	s_mov_b32 s40, 0x923c349f
	;; [unrolled: 1-line block ×6, first 2 shown]
	v_add_f64 v[0:1], v[2:3], v[0:1]
	v_fma_f64 v[2:3], v[140:141], s[28:29], v[90:91]
	v_add_f64 v[4:5], v[6:7], v[4:5]
	v_add_f64 v[136:137], v[72:73], -v[44:45]
	v_mul_f64 v[94:95], v[108:109], s[16:17]
	v_fma_f64 v[6:7], v[140:141], s[36:37], v[96:97]
	v_mul_f64 v[98:99], v[108:109], s[2:3]
	v_add_f64 v[150:151], v[62:63], v[50:51]
	s_mov_b32 s44, 0x4363dd80
	s_mov_b32 s20, 0x370991
	;; [unrolled: 1-line block ×6, first 2 shown]
	v_add_f64 v[0:1], v[2:3], v[0:1]
	v_fma_f64 v[2:3], v[136:137], s[44:45], v[94:95]
	v_add_f64 v[4:5], v[6:7], v[4:5]
	v_fma_f64 v[6:7], v[136:137], s[30:31], v[98:99]
	v_add_f64 v[124:125], v[64:65], -v[52:53]
	v_mul_f64 v[104:105], v[150:151], s[18:19]
	v_mul_f64 v[106:107], v[150:151], s[20:21]
	v_add_f64 v[122:123], v[46:47], v[66:67]
	s_mov_b32 s38, 0x5d8e7cdc
	s_mov_b32 s39, 0xbfd71e95
	v_add_f64 v[0:1], v[2:3], v[0:1]
	v_add_f64 v[2:3], v[6:7], v[4:5]
	v_add_f64 v[128:129], v[68:69], -v[48:49]
	v_fma_f64 v[4:5], v[124:125], s[36:37], v[104:105]
	v_fma_f64 v[6:7], v[124:125], s[38:39], v[106:107]
	v_mul_f64 v[114:115], v[122:123], s[10:11]
	v_mul_f64 v[116:117], v[122:123], s[4:5]
	;; [unrolled: 1-line block ×3, first 2 shown]
	s_mov_b32 s49, 0x3feca52d
	s_mov_b32 s48, s26
	v_mul_f64 v[188:189], v[88:89], s[18:19]
	v_add_f64 v[0:1], v[4:5], v[0:1]
	v_add_f64 v[2:3], v[6:7], v[2:3]
	v_fma_f64 v[4:5], v[128:129], s[48:49], v[114:115]
	v_fma_f64 v[6:7], v[128:129], s[22:23], v[116:117]
	;; [unrolled: 1-line block ×3, first 2 shown]
	v_mul_f64 v[132:133], v[100:101], s[14:15]
	v_mul_f64 v[190:191], v[100:101], s[16:17]
	;; [unrolled: 1-line block ×5, first 2 shown]
	v_add_f64 v[0:1], v[4:5], v[0:1]
	v_add_f64 v[4:5], v[6:7], v[2:3]
	v_fma_f64 v[2:3], v[118:119], s[40:41], v[188:189]
	v_add_f64 v[6:7], v[8:9], v[12:13]
	v_fma_f64 v[8:9], v[126:127], s[28:29], v[132:133]
	v_fma_f64 v[142:143], v[126:127], s[44:45], v[190:191]
	v_mul_f64 v[158:159], v[102:103], s[20:21]
	v_fma_f64 v[146:147], v[118:119], s[38:39], v[144:145]
	v_mul_f64 v[148:149], v[100:101], s[2:3]
	s_mov_b32 s47, 0x3fd71e95
	v_add_f64 v[2:3], v[2:3], v[12:13]
	s_mov_b32 s46, s38
	v_add_f64 v[6:7], v[8:9], v[6:7]
	v_fma_f64 v[8:9], v[138:139], s[36:37], v[134:135]
	v_mul_f64 v[174:175], v[102:103], s[10:11]
	v_add_f64 v[146:147], v[146:147], v[12:13]
	v_fma_f64 v[154:155], v[126:127], s[34:35], v[148:149]
	v_mul_f64 v[152:153], v[120:121], s[10:11]
	v_add_f64 v[2:3], v[142:143], v[2:3]
	v_fma_f64 v[142:143], v[138:139], s[30:31], v[192:193]
	v_mul_f64 v[166:167], v[108:109], s[10:11]
	v_add_f64 v[6:7], v[8:9], v[6:7]
	v_fma_f64 v[8:9], v[140:141], s[46:47], v[158:159]
	v_mul_f64 v[176:177], v[108:109], s[14:15]
	v_mul_f64 v[170:171], v[150:151], s[16:17]
	v_mul_f64 v[180:181], v[150:151], s[4:5]
	;; [unrolled: 1-line block ×3, first 2 shown]
	v_add_f64 v[2:3], v[142:143], v[2:3]
	v_fma_f64 v[142:143], v[140:141], s[26:27], v[174:175]
	s_mov_b32 s51, 0xbfe0d888
	v_add_f64 v[6:7], v[8:9], v[6:7]
	v_add_f64 v[8:9], v[154:155], v[146:147]
	v_fma_f64 v[146:147], v[138:139], s[26:27], v[152:153]
	v_mul_f64 v[154:155], v[102:103], s[4:5]
	v_fma_f64 v[160:161], v[136:137], s[28:29], v[176:177]
	s_mov_b32 s50, s44
	v_add_f64 v[2:3], v[142:143], v[2:3]
	v_fma_f64 v[142:143], v[136:137], s[26:27], v[166:167]
	s_mov_b32 s55, 0x3fefdd0d
	s_mov_b32 s54, s22
	v_add_f64 v[8:9], v[146:147], v[8:9]
	v_fma_f64 v[146:147], v[140:141], s[22:23], v[154:155]
	v_fma_f64 v[162:163], v[124:125], s[50:51], v[170:171]
	;; [unrolled: 1-line block ×3, first 2 shown]
	v_add_f64 v[2:3], v[160:161], v[2:3]
	v_add_f64 v[6:7], v[142:143], v[6:7]
	v_fma_f64 v[184:185], v[136:137], s[40:41], v[156:157]
	v_mul_f64 v[160:161], v[150:151], s[6:7]
	v_add_f64 v[168:169], v[54:55], v[58:59]
	v_add_f64 v[8:9], v[146:147], v[8:9]
	v_mul_f64 v[178:179], v[122:123], s[6:7]
	v_mul_f64 v[182:183], v[122:123], s[20:21]
	v_add_f64 v[2:3], v[164:165], v[2:3]
	v_add_f64 v[6:7], v[162:163], v[6:7]
	v_mul_f64 v[162:163], v[122:123], s[16:17]
	v_fma_f64 v[164:165], v[124:125], s[24:25], v[160:161]
	s_mov_b32 s53, 0x3fe9895b
	v_add_f64 v[8:9], v[184:185], v[8:9]
	s_mov_b32 s52, s24
	v_add_f64 v[172:173], v[60:61], -v[56:57]
	v_mul_f64 v[142:143], v[168:169], s[20:21]
	v_mul_f64 v[146:147], v[168:169], s[16:17]
	v_fma_f64 v[194:195], v[128:129], s[52:53], v[178:179]
	v_fma_f64 v[196:197], v[128:129], s[38:39], v[182:183]
	v_mul_f64 v[184:185], v[168:169], s[2:3]
	v_mul_f64 v[186:187], v[168:169], s[6:7]
	v_add_f64 v[8:9], v[164:165], v[8:9]
	v_fma_f64 v[198:199], v[128:129], s[50:51], v[162:163]
	v_mul_f64 v[164:165], v[168:169], s[14:15]
	v_fma_f64 v[200:201], v[172:173], s[46:47], v[142:143]
	v_fma_f64 v[202:203], v[172:173], s[50:51], v[146:147]
	v_add_f64 v[6:7], v[194:195], v[6:7]
	v_add_f64 v[194:195], v[196:197], v[2:3]
	v_fma_f64 v[196:197], v[172:173], s[30:31], v[184:185]
	v_fma_f64 v[204:205], v[172:173], s[24:25], v[186:187]
	v_add_f64 v[8:9], v[198:199], v[8:9]
	v_fma_f64 v[198:199], v[172:173], s[28:29], v[164:165]
	v_add_f64 v[2:3], v[200:201], v[0:1]
	v_add_f64 v[0:1], v[202:203], v[4:5]
	;; [unrolled: 1-line block ×5, first 2 shown]
	s_and_saveexec_b64 s[56:57], s[0:1]
	s_cbranch_execz .LBB0_13
; %bb.12:
	v_mul_f64 v[194:195], v[118:119], s[28:29]
	v_mul_f64 v[204:205], v[126:127], s[46:47]
	;; [unrolled: 1-line block ×8, first 2 shown]
	v_fma_f64 v[206:207], v[88:89], s[14:15], v[194:195]
	v_fma_f64 v[220:221], v[100:101], s[20:21], v[204:205]
	v_fma_f64 v[194:195], v[88:89], s[14:15], -v[194:195]
	v_fma_f64 v[232:233], v[120:121], s[16:17], v[218:219]
	v_fma_f64 v[204:205], v[100:101], s[20:21], -v[204:205]
	;; [unrolled: 2-line block ×3, first 2 shown]
	v_fma_f64 v[230:231], v[102:103], s[2:3], -v[230:231]
	v_add_f64 v[206:207], v[206:207], v[12:13]
	v_fma_f64 v[246:247], v[108:109], s[6:7], v[238:239]
	v_add_f64 v[194:195], v[194:195], v[12:13]
	v_mul_f64 v[248:249], v[140:141], s[52:53]
	v_fma_f64 v[238:239], v[108:109], s[6:7], -v[238:239]
	v_mov_b32_e32 v8, v199
	v_mul_f64 v[196:197], v[118:119], s[38:39]
	v_mov_b32_e32 v9, v200
	v_add_f64 v[206:207], v[220:221], v[206:207]
	v_mul_f64 v[198:199], v[118:119], s[34:35]
	v_add_f64 v[194:195], v[204:205], v[194:195]
	v_mul_f64 v[200:201], v[118:119], s[26:27]
	v_mul_f64 v[202:203], v[118:119], s[22:23]
	;; [unrolled: 1-line block ×5, first 2 shown]
	v_add_f64 v[206:207], v[232:233], v[206:207]
	v_mul_f64 v[232:233], v[118:119], s[50:51]
	v_add_f64 v[194:195], v[218:219], v[194:195]
	v_mul_f64 v[218:219], v[126:127], s[48:49]
	v_mul_f64 v[118:119], v[118:119], s[24:25]
	;; [unrolled: 1-line block ×5, first 2 shown]
	v_add_f64 v[206:207], v[240:241], v[206:207]
	v_fma_f64 v[240:241], v[88:89], s[16:17], -v[232:233]
	v_fma_f64 v[232:233], v[88:89], s[16:17], v[232:233]
	v_add_f64 v[194:195], v[230:231], v[194:195]
	v_fma_f64 v[230:231], v[100:101], s[10:11], -v[218:219]
	v_fma_f64 v[218:219], v[100:101], s[10:11], v[218:219]
	v_mul_f64 v[126:127], v[126:127], s[36:37]
	v_mul_f64 v[204:205], v[172:173], s[54:55]
	v_add_f64 v[206:207], v[246:247], v[206:207]
	v_add_f64 v[240:241], v[240:241], v[12:13]
	v_add_f64 v[232:233], v[232:233], v[12:13]
	v_fma_f64 v[246:247], v[150:151], s[10:11], v[244:245]
	v_fma_f64 v[244:245], v[150:151], s[10:11], -v[244:245]
	v_add_f64 v[194:195], v[238:239], v[194:195]
	v_mul_f64 v[238:239], v[136:137], s[38:39]
	v_mul_f64 v[224:225], v[138:139], s[26:27]
	;; [unrolled: 1-line block ×3, first 2 shown]
	v_add_f64 v[230:231], v[230:231], v[240:241]
	v_fma_f64 v[240:241], v[120:121], s[4:5], v[250:251]
	v_add_f64 v[218:219], v[218:219], v[232:233]
	v_add_f64 v[206:207], v[246:247], v[206:207]
	v_fma_f64 v[246:247], v[122:123], s[18:19], v[242:243]
	v_fma_f64 v[250:251], v[120:121], s[4:5], -v[250:251]
	v_fma_f64 v[232:233], v[122:123], s[18:19], -v[242:243]
	v_fma_f64 v[242:243], v[102:103], s[6:7], v[248:249]
	v_add_f64 v[194:195], v[244:245], v[194:195]
	v_mul_f64 v[244:245], v[124:125], s[28:29]
	v_add_f64 v[218:219], v[240:241], v[218:219]
	v_fma_f64 v[240:241], v[88:89], s[6:7], v[118:119]
	v_add_f64 v[206:207], v[246:247], v[206:207]
	v_fma_f64 v[246:247], v[102:103], s[6:7], -v[248:249]
	v_add_f64 v[230:231], v[250:251], v[230:231]
	v_fma_f64 v[248:249], v[108:109], s[20:21], v[238:239]
	v_mul_f64 v[228:229], v[138:139], s[42:43]
	v_fma_f64 v[250:251], v[150:151], s[14:15], v[244:245]
	v_add_f64 v[218:219], v[242:243], v[218:219]
	v_fma_f64 v[242:243], v[100:101], s[18:19], v[126:127]
	v_add_f64 v[240:241], v[240:241], v[12:13]
	v_mul_f64 v[220:221], v[138:139], s[36:37]
	v_add_f64 v[230:231], v[246:247], v[230:231]
	v_mul_f64 v[246:247], v[128:129], s[30:31]
	v_mul_f64 v[234:235], v[138:139], s[30:31]
	v_fma_f64 v[238:239], v[108:109], s[20:21], -v[238:239]
	v_add_f64 v[218:219], v[248:249], v[218:219]
	v_mul_f64 v[138:139], v[138:139], s[38:39]
	v_add_f64 v[240:241], v[242:243], v[240:241]
	v_fma_f64 v[242:243], v[168:169], s[4:5], v[204:205]
	v_add_f64 v[194:195], v[232:233], v[194:195]
	v_fma_f64 v[232:233], v[122:123], s[2:3], -v[246:247]
	v_fma_f64 v[204:205], v[168:169], s[4:5], -v[204:205]
	v_fma_f64 v[246:247], v[122:123], s[2:3], v[246:247]
	v_add_f64 v[218:219], v[250:251], v[218:219]
	v_fma_f64 v[88:89], v[88:89], s[6:7], -v[118:119]
	v_mul_f64 v[236:237], v[140:141], s[22:23]
	v_add_f64 v[230:231], v[238:239], v[230:231]
	v_mul_f64 v[238:239], v[140:141], s[50:51]
	v_fma_f64 v[248:249], v[120:121], s[20:21], v[138:139]
	v_add_f64 v[206:207], v[242:243], v[206:207]
	v_mul_f64 v[242:243], v[140:141], s[28:29]
	v_add_f64 v[194:195], v[204:205], v[194:195]
	v_mul_f64 v[204:205], v[140:141], s[36:37]
	;; [unrolled: 2-line block ×3, first 2 shown]
	v_mul_f64 v[140:141], v[140:141], s[26:27]
	v_fma_f64 v[100:101], v[100:101], s[18:19], -v[126:127]
	v_add_f64 v[88:89], v[88:89], v[12:13]
	v_fma_f64 v[120:121], v[120:121], s[20:21], -v[138:139]
	v_add_f64 v[138:139], v[192:193], -v[234:235]
	v_add_f64 v[192:193], v[38:39], v[12:13]
	v_fma_f64 v[250:251], v[102:103], s[16:17], v[238:239]
	v_fma_f64 v[102:103], v[102:103], s[16:17], -v[238:239]
	v_add_f64 v[140:141], v[174:175], -v[140:141]
	v_fma_f64 v[244:245], v[150:151], s[14:15], -v[244:245]
	v_add_f64 v[88:89], v[100:101], v[88:89]
	v_add_f64 v[18:19], v[18:19], -v[200:201]
	v_add_f64 v[144:145], v[144:145], -v[196:197]
	v_add_f64 v[174:175], v[74:75], v[192:193]
	v_add_f64 v[10:11], v[10:11], -v[198:199]
	v_add_f64 v[188:189], v[188:189], -v[208:209]
	;; [unrolled: 1-line block ×3, first 2 shown]
	v_add_f64 v[230:231], v[244:245], v[230:231]
	v_add_f64 v[88:89], v[120:121], v[88:89]
	v_mul_f64 v[244:245], v[172:173], s[40:41]
	v_add_f64 v[240:241], v[248:249], v[240:241]
	v_add_f64 v[174:175], v[82:83], v[174:175]
	v_mul_f64 v[248:249], v[136:137], s[54:55]
	v_add_f64 v[86:87], v[86:87], -v[214:215]
	v_add_f64 v[18:19], v[18:19], v[12:13]
	v_add_f64 v[230:231], v[232:233], v[230:231]
	;; [unrolled: 1-line block ×3, first 2 shown]
	v_fma_f64 v[232:233], v[168:169], s[18:19], -v[244:245]
	v_add_f64 v[148:149], v[148:149], -v[210:211]
	v_add_f64 v[102:103], v[78:79], v[174:175]
	v_add_f64 v[144:145], v[144:145], v[12:13]
	v_add_f64 v[16:17], v[16:17], -v[212:213]
	v_add_f64 v[10:11], v[10:11], v[12:13]
	v_add_f64 v[190:191], v[190:191], -v[222:223]
	;; [unrolled: 2-line block ×3, first 2 shown]
	v_add_f64 v[12:13], v[130:131], v[12:13]
	v_add_f64 v[102:103], v[70:71], v[102:103]
	;; [unrolled: 1-line block ×3, first 2 shown]
	v_fma_f64 v[250:251], v[108:109], s[4:5], v[248:249]
	v_add_f64 v[230:231], v[232:233], v[230:231]
	v_mul_f64 v[232:233], v[124:125], s[34:35]
	v_add_f64 v[92:93], v[92:93], -v[228:229]
	v_add_f64 v[18:19], v[86:87], v[18:19]
	v_add_f64 v[86:87], v[152:153], -v[224:225]
	v_add_f64 v[102:103], v[62:63], v[102:103]
	v_add_f64 v[130:131], v[148:149], v[144:145]
	v_add_f64 v[20:21], v[20:21], -v[226:227]
	v_add_f64 v[10:11], v[16:17], v[10:11]
	v_add_f64 v[188:189], v[190:191], v[188:189]
	v_fma_f64 v[108:109], v[108:109], s[4:5], -v[248:249]
	v_add_f64 v[134:135], v[134:135], -v[220:221]
	v_add_f64 v[12:13], v[132:133], v[12:13]
	v_add_f64 v[102:103], v[66:67], v[102:103]
	;; [unrolled: 1-line block ×3, first 2 shown]
	v_mul_f64 v[250:251], v[136:137], s[40:41]
	v_mul_f64 v[208:209], v[136:137], s[44:45]
	v_fma_f64 v[118:119], v[150:151], s[2:3], v[232:233]
	v_fma_f64 v[150:151], v[150:151], s[2:3], -v[232:233]
	v_mul_f64 v[232:233], v[136:137], s[30:31]
	v_add_f64 v[16:17], v[96:97], -v[204:205]
	v_add_f64 v[102:103], v[58:59], v[102:103]
	v_add_f64 v[18:19], v[92:93], v[18:19]
	v_add_f64 v[92:93], v[154:155], -v[236:237]
	v_add_f64 v[86:87], v[86:87], v[130:131]
	v_add_f64 v[90:91], v[90:91], -v[242:243]
	v_add_f64 v[10:11], v[20:21], v[10:11]
	v_mul_f64 v[222:223], v[136:137], s[26:27]
	v_mul_f64 v[136:137], v[136:137], s[28:29]
	v_add_f64 v[102:103], v[54:55], v[102:103]
	v_add_f64 v[138:139], v[138:139], v[188:189]
	v_add_f64 v[88:89], v[108:109], v[88:89]
	v_add_f64 v[158:159], v[158:159], -v[246:247]
	v_add_f64 v[12:13], v[134:135], v[12:13]
	v_mul_f64 v[126:127], v[124:125], s[24:25]
	v_mul_f64 v[190:191], v[124:125], s[38:39]
	v_add_f64 v[20:21], v[98:99], -v[232:233]
	v_add_f64 v[102:103], v[46:47], v[102:103]
	v_add_f64 v[16:17], v[16:17], v[18:19]
	v_add_f64 v[18:19], v[94:95], -v[208:209]
	v_add_f64 v[94:95], v[156:157], -v[250:251]
	v_add_f64 v[86:87], v[92:93], v[86:87]
	v_mul_f64 v[234:235], v[124:125], s[36:37]
	v_add_f64 v[10:11], v[90:91], v[10:11]
	v_mul_f64 v[100:101], v[124:125], s[50:51]
	;; [unrolled: 2-line block ×3, first 2 shown]
	v_add_f64 v[136:137], v[176:177], -v[136:137]
	v_add_f64 v[138:139], v[140:141], v[138:139]
	v_add_f64 v[88:89], v[150:151], v[88:89]
	v_add_f64 v[150:151], v[166:167], -v[222:223]
	v_add_f64 v[12:13], v[158:159], v[12:13]
	v_mul_f64 v[192:193], v[128:129], s[50:51]
	v_add_f64 v[92:93], v[42:43], v[96:97]
	v_mul_f64 v[238:239], v[128:129], s[22:23]
	v_add_f64 v[90:91], v[106:107], -v[190:191]
	v_add_f64 v[16:17], v[20:21], v[16:17]
	v_add_f64 v[96:97], v[160:161], -v[126:127]
	v_add_f64 v[86:87], v[94:95], v[86:87]
	v_mul_f64 v[188:189], v[128:129], s[48:49]
	v_add_f64 v[20:21], v[104:105], -v[234:235]
	v_add_f64 v[92:93], v[34:35], v[92:93]
	v_add_f64 v[10:11], v[18:19], v[10:11]
	v_mul_f64 v[120:121], v[128:129], s[52:53]
	v_mul_f64 v[176:177], v[128:129], s[38:39]
	v_add_f64 v[124:125], v[180:181], -v[124:125]
	v_add_f64 v[136:137], v[136:137], v[138:139]
	v_add_f64 v[100:101], v[170:171], -v[100:101]
	v_add_f64 v[12:13], v[150:151], v[12:13]
	v_mul_f64 v[128:129], v[128:129], s[28:29]
	v_mul_f64 v[140:141], v[172:173], s[28:29]
	;; [unrolled: 1-line block ×3, first 2 shown]
	v_add_f64 v[18:19], v[116:117], -v[238:239]
	v_add_f64 v[16:17], v[90:91], v[16:17]
	v_add_f64 v[94:95], v[162:163], -v[192:193]
	v_add_f64 v[86:87], v[96:97], v[86:87]
	v_add_f64 v[92:93], v[30:31], v[92:93]
	v_mul_f64 v[248:249], v[172:173], s[46:47]
	v_add_f64 v[90:91], v[114:115], -v[188:189]
	v_add_f64 v[10:11], v[20:21], v[10:11]
	v_mul_f64 v[180:181], v[172:173], s[48:49]
	v_mul_f64 v[138:139], v[172:173], s[30:31]
	;; [unrolled: 1-line block ×3, first 2 shown]
	v_add_f64 v[176:177], v[182:183], -v[176:177]
	v_add_f64 v[124:125], v[124:125], v[136:137]
	v_add_f64 v[120:121], v[178:179], -v[120:121]
	v_add_f64 v[12:13], v[100:101], v[12:13]
	v_fma_f64 v[136:137], v[122:123], s[14:15], v[128:129]
	v_fma_f64 v[122:123], v[122:123], s[14:15], -v[128:129]
	v_add_f64 v[118:119], v[118:119], v[240:241]
	v_add_f64 v[20:21], v[146:147], -v[174:175]
	v_add_f64 v[16:17], v[18:19], v[16:17]
	v_add_f64 v[96:97], v[164:165], -v[140:141]
	v_add_f64 v[86:87], v[94:95], v[86:87]
	v_add_f64 v[92:93], v[26:27], v[92:93]
	v_add_f64 v[18:19], v[142:143], -v[248:249]
	v_add_f64 v[10:11], v[90:91], v[10:11]
	v_add_f64 v[128:129], v[186:187], -v[172:173]
	;; [unrolled: 2-line block ×3, first 2 shown]
	v_add_f64 v[12:13], v[120:121], v[12:13]
	v_fma_f64 v[244:245], v[168:169], s[18:19], v[244:245]
	v_fma_f64 v[108:109], v[168:169], s[10:11], v[180:181]
	v_fma_f64 v[168:169], v[168:169], s[10:11], -v[180:181]
	v_add_f64 v[88:89], v[122:123], v[88:89]
	v_add_f64 v[90:91], v[136:137], v[118:119]
	v_add_f64 v[16:17], v[20:21], v[16:17]
	v_add_f64 v[20:21], v[96:97], v[86:87]
	v_add_f64 v[86:87], v[22:23], v[92:93]
	v_add_f64 v[10:11], v[18:19], v[10:11]
	v_add_f64 v[94:95], v[128:129], v[124:125]
	v_add_f64 v[12:13], v[138:139], v[12:13]
	v_add_f64 v[18:19], v[168:169], v[88:89]
	v_add_f64 v[88:89], v[244:245], v[218:219]
	v_add_f64 v[90:91], v[108:109], v[90:91]
	v_mov_b32_e32 v200, v9
	s_movk_i32 s33, 0x88
	v_mov_b32_e32 v199, v8
	v_mad_u32_u24 v8, v110, s33, 0
	ds_write2_b64 v8, v[86:87], v[20:21] offset1:1
	ds_write2_b64 v8, v[10:11], v[16:17] offset0:2 offset1:3
	ds_write2_b64 v8, v[12:13], v[94:95] offset0:4 offset1:5
	;; [unrolled: 1-line block ×7, first 2 shown]
	ds_write_b64 v8, v[199:200] offset:128
.LBB0_13:
	s_or_b64 exec, exec, s[56:57]
	v_add_f64 v[164:165], v[38:39], -v[22:23]
	v_add_f64 v[152:153], v[40:41], v[24:25]
	v_add_f64 v[172:173], v[74:75], -v[26:27]
	v_add_f64 v[146:147], v[76:77], v[28:29]
	;; [unrolled: 2-line block ×4, first 2 shown]
	v_mul_f64 v[190:191], v[164:165], s[38:39]
	v_mul_f64 v[192:193], v[164:165], s[34:35]
	;; [unrolled: 1-line block ×8, first 2 shown]
	v_fma_f64 v[10:11], v[152:153], s[20:21], -v[190:191]
	v_fma_f64 v[12:13], v[152:153], s[2:3], -v[192:193]
	;; [unrolled: 1-line block ×3, first 2 shown]
	v_mul_f64 v[188:189], v[172:173], s[28:29]
	v_mul_f64 v[174:175], v[172:173], s[44:45]
	;; [unrolled: 1-line block ×3, first 2 shown]
	v_fma_f64 v[18:19], v[152:153], s[4:5], -v[178:179]
	v_fma_f64 v[20:21], v[152:153], s[18:19], -v[180:181]
	;; [unrolled: 1-line block ×4, first 2 shown]
	v_add_f64 v[10:11], v[10:11], v[14:15]
	v_fma_f64 v[30:31], v[146:147], s[6:7], -v[186:187]
	v_add_f64 v[12:13], v[12:13], v[14:15]
	v_add_f64 v[16:17], v[16:17], v[14:15]
	v_mul_f64 v[166:167], v[126:127], s[24:25]
	v_mul_f64 v[160:161], v[126:127], s[42:43]
	v_fma_f64 v[38:39], v[146:147], s[14:15], -v[188:189]
	v_add_f64 v[18:19], v[18:19], v[14:15]
	v_fma_f64 v[74:75], v[146:147], s[16:17], -v[174:175]
	v_add_f64 v[20:21], v[20:21], v[14:15]
	v_add_f64 v[10:11], v[22:23], v[10:11]
	;; [unrolled: 1-line block ×4, first 2 shown]
	v_fma_f64 v[22:23], v[118:119], s[10:11], -v[156:157]
	v_fma_f64 v[26:27], v[118:119], s[6:7], -v[166:167]
	;; [unrolled: 1-line block ×3, first 2 shown]
	v_mul_f64 v[170:171], v[126:127], s[36:37]
	v_mul_f64 v[168:169], v[126:127], s[30:31]
	;; [unrolled: 1-line block ×3, first 2 shown]
	v_add_f64 v[18:19], v[38:39], v[18:19]
	v_add_f64 v[20:21], v[74:75], v[20:21]
	v_mul_f64 v[150:151], v[124:125], s[28:29]
	v_add_f64 v[10:11], v[22:23], v[10:11]
	v_add_f64 v[12:13], v[26:27], v[12:13]
	;; [unrolled: 1-line block ×3, first 2 shown]
	v_fma_f64 v[22:23], v[118:119], s[18:19], -v[170:171]
	v_add_f64 v[74:75], v[70:71], -v[42:43]
	v_fma_f64 v[26:27], v[118:119], s[2:3], -v[168:169]
	v_fma_f64 v[30:31], v[120:121], s[4:5], -v[148:149]
	v_mul_f64 v[162:163], v[124:125], s[36:37]
	v_mul_f64 v[158:159], v[124:125], s[46:47]
	;; [unrolled: 1-line block ×3, first 2 shown]
	v_fma_f64 v[34:35], v[120:121], s[14:15], -v[150:151]
	v_add_f64 v[70:71], v[72:73], v[44:45]
	v_mul_f64 v[138:139], v[74:75], s[40:41]
	v_add_f64 v[18:19], v[22:23], v[18:19]
	v_add_f64 v[20:21], v[26:27], v[20:21]
	;; [unrolled: 1-line block ×3, first 2 shown]
	v_fma_f64 v[22:23], v[120:121], s[18:19], -v[162:163]
	v_fma_f64 v[26:27], v[120:121], s[20:21], -v[158:159]
	v_fma_f64 v[30:31], v[120:121], s[10:11], -v[154:155]
	v_mul_f64 v[144:145], v[74:75], s[44:45]
	v_mul_f64 v[142:143], v[74:75], s[30:31]
	;; [unrolled: 1-line block ×3, first 2 shown]
	v_add_f64 v[62:63], v[62:63], -v[50:51]
	v_add_f64 v[12:13], v[34:35], v[12:13]
	v_fma_f64 v[34:35], v[70:71], s[18:19], -v[138:139]
	v_add_f64 v[16:17], v[22:23], v[16:17]
	v_add_f64 v[18:19], v[26:27], v[18:19]
	v_add_f64 v[20:21], v[30:31], v[20:21]
	v_fma_f64 v[22:23], v[70:71], s[16:17], -v[144:145]
	v_fma_f64 v[26:27], v[70:71], s[2:3], -v[142:143]
	;; [unrolled: 1-line block ×3, first 2 shown]
	v_mul_f64 v[140:141], v[74:75], s[28:29]
	v_add_f64 v[50:51], v[64:65], v[52:53]
	v_mul_f64 v[128:129], v[62:63], s[24:25]
	v_mul_f64 v[130:131], v[62:63], s[36:37]
	;; [unrolled: 1-line block ×3, first 2 shown]
	v_add_f64 v[42:43], v[66:67], -v[46:47]
	v_add_f64 v[10:11], v[34:35], v[10:11]
	v_add_f64 v[12:13], v[22:23], v[12:13]
	;; [unrolled: 1-line block ×4, first 2 shown]
	v_fma_f64 v[22:23], v[70:71], s[14:15], -v[140:141]
	v_fma_f64 v[26:27], v[50:51], s[6:7], -v[128:129]
	;; [unrolled: 1-line block ×4, first 2 shown]
	v_mul_f64 v[136:137], v[62:63], s[50:51]
	v_mul_f64 v[134:135], v[62:63], s[54:55]
	v_add_f64 v[38:39], v[48:49], v[68:69]
	v_mul_f64 v[114:115], v[42:43], s[50:51]
	v_mul_f64 v[116:117], v[42:43], s[48:49]
	v_add_f64 v[20:21], v[22:23], v[20:21]
	v_add_f64 v[10:11], v[26:27], v[10:11]
	;; [unrolled: 1-line block ×3, first 2 shown]
	v_fma_f64 v[22:23], v[50:51], s[16:17], -v[136:137]
	v_add_f64 v[16:17], v[34:35], v[16:17]
	v_fma_f64 v[30:31], v[50:51], s[4:5], -v[134:135]
	v_fma_f64 v[34:35], v[38:39], s[16:17], -v[114:115]
	;; [unrolled: 1-line block ×3, first 2 shown]
	v_mul_f64 v[78:79], v[42:43], s[22:23]
	v_mul_f64 v[82:83], v[42:43], s[52:53]
	;; [unrolled: 1-line block ×3, first 2 shown]
	v_add_f64 v[26:27], v[58:59], -v[54:55]
	v_add_f64 v[18:19], v[22:23], v[18:19]
	v_add_f64 v[20:21], v[30:31], v[20:21]
	;; [unrolled: 1-line block ×4, first 2 shown]
	v_fma_f64 v[12:13], v[38:39], s[4:5], -v[78:79]
	v_fma_f64 v[88:89], v[38:39], s[6:7], -v[82:83]
	;; [unrolled: 1-line block ×3, first 2 shown]
	v_add_f64 v[10:11], v[56:57], v[60:61]
	v_mul_f64 v[58:59], v[26:27], s[28:29]
	v_mul_f64 v[54:55], v[26:27], s[46:47]
	;; [unrolled: 1-line block ×5, first 2 shown]
	v_add_f64 v[16:17], v[12:13], v[16:17]
	v_add_f64 v[88:89], v[88:89], v[18:19]
	;; [unrolled: 1-line block ×3, first 2 shown]
	v_fma_f64 v[12:13], v[10:11], s[14:15], -v[58:59]
	v_fma_f64 v[18:19], v[10:11], s[20:21], -v[54:55]
	;; [unrolled: 1-line block ×5, first 2 shown]
	v_lshl_add_u32 v111, v110, 3, 0
	v_add_u32_e32 v194, 0x800, v111
	v_add_u32_e32 v195, 0x1e00, v111
	v_add_f64 v[243:244], v[12:13], v[22:23]
	v_add_f64 v[18:19], v[18:19], v[86:87]
	;; [unrolled: 1-line block ×5, first 2 shown]
	v_add_u32_e32 v196, 0x2800, v111
	v_add_u32_e32 v198, 0x1400, v111
	;; [unrolled: 1-line block ×3, first 2 shown]
	s_waitcnt lgkmcnt(0)
	s_barrier
	ds_read2_b64 v[90:93], v111 offset1:170
	ds_read2_b64 v[86:89], v194 offset0:84 offset1:254
	ds_read2_b64 v[106:109], v195 offset0:60 offset1:230
	;; [unrolled: 1-line block ×5, first 2 shown]
	s_waitcnt lgkmcnt(0)
	s_barrier
	s_and_saveexec_b64 s[22:23], s[0:1]
	s_cbranch_execz .LBB0_15
; %bb.14:
	v_add_f64 v[40:41], v[40:41], v[14:15]
	v_mul_f64 v[12:13], v[38:39], s[4:5]
	v_mul_f64 v[247:248], v[152:153], s[10:11]
	;; [unrolled: 1-line block ×7, first 2 shown]
	v_add_f64 v[40:41], v[76:77], v[40:41]
	buffer_store_dword v12, off, s[60:63], 0 offset:48 ; 4-byte Folded Spill
	s_nop 0
	buffer_store_dword v13, off, s[60:63], 0 offset:52 ; 4-byte Folded Spill
	v_mul_f64 v[12:13], v[38:39], s[6:7]
	v_mul_f64 v[76:77], v[152:153], s[20:21]
	;; [unrolled: 1-line block ×4, first 2 shown]
	s_mov_b32 s28, 0x4363dd80
	s_mov_b32 s29, 0xbfe0d888
	v_add_f64 v[40:41], v[84:85], v[40:41]
	buffer_store_dword v12, off, s[60:63], 0 offset:40 ; 4-byte Folded Spill
	s_nop 0
	buffer_store_dword v13, off, s[60:63], 0 offset:44 ; 4-byte Folded Spill
	v_mul_f64 v[12:13], v[38:39], s[20:21]
	v_mul_f64 v[84:85], v[152:153], s[4:5]
	;; [unrolled: 1-line block ×5, first 2 shown]
	v_add_f64 v[40:41], v[80:81], v[40:41]
	v_mul_f64 v[209:210], v[146:147], s[6:7]
	buffer_store_dword v12, off, s[60:63], 0 offset:32 ; 4-byte Folded Spill
	s_nop 0
	buffer_store_dword v13, off, s[60:63], 0 offset:36 ; 4-byte Folded Spill
	v_mul_f64 v[12:13], v[10:11], s[14:15]
	v_mul_f64 v[213:214], v[146:147], s[16:17]
	v_add_f64 v[76:77], v[76:77], v[190:191]
	v_add_f64 v[84:85], v[84:85], v[178:179]
	;; [unrolled: 1-line block ×3, first 2 shown]
	v_mul_f64 v[72:73], v[120:121], s[18:19]
	s_mov_b32 s18, 0x6c9a05f6
	buffer_store_dword v12, off, s[60:63], 0 offset:16 ; 4-byte Folded Spill
	s_nop 0
	buffer_store_dword v13, off, s[60:63], 0 offset:20 ; 4-byte Folded Spill
	v_mul_f64 v[12:13], v[10:11], s[20:21]
	s_mov_b32 s19, 0xbfe9895b
	v_mul_f64 v[80:81], v[118:119], s[10:11]
	v_add_f64 v[40:41], v[64:65], v[40:41]
	v_mul_f64 v[64:65], v[70:71], s[14:15]
	s_mov_b32 s14, 0xacd6c6b4
	s_mov_b32 s15, 0xbfc7851a
	buffer_store_dword v12, off, s[60:63], 0 offset:8 ; 4-byte Folded Spill
	s_nop 0
	buffer_store_dword v13, off, s[60:63], 0 offset:12 ; 4-byte Folded Spill
	v_mul_f64 v[12:13], v[10:11], s[16:17]
	v_mul_f64 v[215:216], v[118:119], s[6:7]
	v_add_f64 v[40:41], v[68:69], v[40:41]
	v_mul_f64 v[229:230], v[120:121], s[10:11]
	v_mul_f64 v[233:234], v[70:71], s[16:17]
	v_mul_f64 v[237:238], v[70:71], s[10:11]
	v_mul_f64 v[239:240], v[50:51], s[6:7]
	buffer_store_dword v12, off, s[60:63], 0 ; 4-byte Folded Spill
	s_nop 0
	buffer_store_dword v13, off, s[60:63], 0 offset:4 ; 4-byte Folded Spill
	v_mul_f64 v[12:13], v[10:11], s[2:3]
	v_add_f64 v[40:41], v[60:61], v[40:41]
	v_mul_f64 v[8:9], v[50:51], s[16:17]
	v_mul_f64 v[112:113], v[38:39], s[16:17]
	;; [unrolled: 1-line block ×4, first 2 shown]
	s_mov_b32 s16, 0x6ed5f1bb
	s_mov_b32 s26, 0x910ea3b9
	;; [unrolled: 1-line block ×3, first 2 shown]
	v_add_f64 v[40:41], v[56:57], v[40:41]
	v_mul_f64 v[56:57], v[164:165], s[18:19]
	s_mov_b32 s6, 0x7c9e640b
	v_mul_f64 v[221:222], v[118:119], s[2:3]
	v_mul_f64 v[235:236], v[70:71], s[2:3]
	v_mov_b32_e32 v254, v253
	buffer_store_dword v12, off, s[60:63], 0 offset:24 ; 4-byte Folded Spill
	s_nop 0
	buffer_store_dword v13, off, s[60:63], 0 offset:28 ; 4-byte Folded Spill
	s_mov_b32 s17, 0xbfe348c8
	v_add_f64 v[40:41], v[48:49], v[40:41]
	v_mul_f64 v[48:49], v[164:165], s[28:29]
	v_mul_f64 v[164:165], v[164:165], s[14:15]
	s_mov_b32 s27, 0xbfeb34fa
	s_mov_b32 s11, 0xbfef7484
	;; [unrolled: 1-line block ×5, first 2 shown]
	v_add_f64 v[40:41], v[52:53], v[40:41]
	v_add_f64 v[52:53], v[247:248], v[176:177]
	;; [unrolled: 1-line block ×3, first 2 shown]
	s_mov_b32 s31, 0x3fd71e95
	s_mov_b32 s30, 0x5d8e7cdc
	v_mov_b32_e32 v253, v252
	v_mul_f64 v[12:13], v[172:173], s[2:3]
	v_mul_f64 v[251:252], v[172:173], s[6:7]
	v_add_f64 v[40:41], v[44:45], v[40:41]
	v_mul_f64 v[172:173], v[172:173], s[30:31]
	v_add_f64 v[190:191], v[201:202], v[192:193]
	v_add_f64 v[178:179], v[205:206], v[182:183]
	;; [unrolled: 1-line block ×7, first 2 shown]
	v_fma_f64 v[174:175], v[152:153], s[16:17], v[56:57]
	v_fma_f64 v[56:57], v[152:153], s[16:17], -v[56:57]
	v_fma_f64 v[186:187], v[152:153], s[26:27], v[48:49]
	v_fma_f64 v[48:49], v[152:153], s[26:27], -v[48:49]
	;; [unrolled: 2-line block ×3, first 2 shown]
	v_add_f64 v[76:77], v[76:77], v[14:15]
	v_add_f64 v[32:33], v[32:33], v[36:37]
	;; [unrolled: 1-line block ×4, first 2 shown]
	s_mov_b32 s34, 0x370991
	s_mov_b32 s35, 0x3fedd6d0
	v_add_f64 v[190:191], v[190:191], v[14:15]
	v_add_f64 v[52:53], v[52:53], v[14:15]
	;; [unrolled: 1-line block ×11, first 2 shown]
	v_fma_f64 v[84:85], v[146:147], s[34:35], -v[172:173]
	v_add_f64 v[80:81], v[80:81], v[156:157]
	s_mov_b32 s0, 0xc61f0d01
	s_mov_b32 s1, 0xbfd183b1
	v_fma_f64 v[40:41], v[146:147], s[0:1], v[12:13]
	v_fma_f64 v[12:13], v[146:147], s[0:1], -v[12:13]
	s_mov_b32 s31, 0xbfd71e95
	v_add_f64 v[36:37], v[184:185], v[36:37]
	v_mul_f64 v[152:153], v[126:127], s[30:31]
	v_add_f64 v[14:15], v[84:85], v[14:15]
	v_add_f64 v[32:33], v[80:81], v[32:33]
	;; [unrolled: 1-line block ×4, first 2 shown]
	v_mul_f64 v[223:224], v[120:121], s[4:5]
	v_mul_f64 v[249:250], v[50:51], s[4:5]
	s_mov_b32 s4, 0x2b2883cd
	s_mov_b32 s5, 0x3fdc86fa
	v_fma_f64 v[164:165], v[146:147], s[4:5], v[251:252]
	v_fma_f64 v[192:193], v[146:147], s[4:5], -v[251:252]
	v_add_f64 v[76:77], v[180:181], v[190:191]
	v_add_f64 v[52:53], v[182:183], v[52:53]
	;; [unrolled: 1-line block ×3, first 2 shown]
	v_fma_f64 v[56:57], v[146:147], s[34:35], v[172:173]
	v_add_f64 v[146:147], v[215:216], v[166:167]
	v_add_f64 v[156:157], v[217:218], v[160:161]
	;; [unrolled: 1-line block ×3, first 2 shown]
	v_mul_f64 v[80:81], v[126:127], s[28:29]
	v_add_f64 v[44:45], v[84:85], v[44:45]
	v_fma_f64 v[84:85], v[118:119], s[34:35], -v[152:153]
	v_mul_f64 v[227:228], v[120:121], s[20:21]
	v_mul_f64 v[245:246], v[50:51], s[20:21]
	s_mov_b32 s21, 0xbfefdd0d
	s_mov_b32 s20, 0xeb564b22
	v_add_f64 v[40:41], v[40:41], v[174:175]
	v_add_f64 v[76:77], v[146:147], v[76:77]
	v_fma_f64 v[146:147], v[118:119], s[34:35], v[152:153]
	v_add_f64 v[52:53], v[156:157], v[52:53]
	v_mul_f64 v[156:157], v[126:127], s[20:21]
	v_fma_f64 v[152:153], v[118:119], s[26:27], v[80:81]
	v_fma_f64 v[80:81], v[118:119], s[26:27], -v[80:81]
	v_add_f64 v[12:13], v[84:85], v[12:13]
	v_add_f64 v[84:85], v[225:226], v[150:151]
	;; [unrolled: 1-line block ×3, first 2 shown]
	s_mov_b32 s24, 0x3259b75e
	s_mov_b32 s25, 0x3fb79ee6
	v_add_f64 v[40:41], v[146:147], v[40:41]
	v_fma_f64 v[126:127], v[118:119], s[24:25], v[156:157]
	v_fma_f64 v[146:147], v[118:119], s[24:25], -v[156:157]
	v_add_f64 v[118:119], v[223:224], v[148:149]
	v_add_f64 v[14:15], v[80:81], v[14:15]
	;; [unrolled: 1-line block ×6, first 2 shown]
	v_mul_f64 v[84:85], v[124:125], s[28:29]
	s_mov_b32 s29, 0x3fe9895b
	s_mov_b32 s28, s18
	v_add_f64 v[32:33], v[118:119], v[32:33]
	v_mul_f64 v[118:119], v[124:125], s[28:29]
	s_mov_b32 s28, 0x2a9d6da3
	s_mov_b32 s29, 0x3fe58eea
	v_add_f64 v[24:25], v[24:25], v[28:29]
	v_add_f64 v[28:29], v[164:165], v[176:177]
	;; [unrolled: 1-line block ×4, first 2 shown]
	v_mul_f64 v[80:81], v[124:125], s[28:29]
	v_add_f64 v[44:45], v[72:73], v[44:45]
	v_fma_f64 v[72:73], v[120:121], s[26:27], v[84:85]
	v_fma_f64 v[84:85], v[120:121], s[26:27], -v[84:85]
	s_mov_b32 s26, 0x75d4884
	s_mov_b32 s27, 0x3fe7a5f6
	v_add_f64 v[28:29], v[126:127], v[28:29]
	v_add_f64 v[48:49], v[146:147], v[48:49]
	v_fma_f64 v[124:125], v[120:121], s[16:17], v[118:119]
	v_fma_f64 v[118:119], v[120:121], s[16:17], -v[118:119]
	v_fma_f64 v[126:127], v[120:121], s[26:27], v[80:81]
	v_fma_f64 v[80:81], v[120:121], s[26:27], -v[80:81]
	v_add_f64 v[40:41], v[72:73], v[40:41]
	v_add_f64 v[72:73], v[231:232], v[138:139]
	s_mov_b32 s21, 0x3fefdd0d
	v_add_f64 v[12:13], v[84:85], v[12:13]
	v_add_f64 v[84:85], v[233:234], v[144:145]
	;; [unrolled: 1-line block ×3, first 2 shown]
	v_mul_f64 v[118:119], v[74:75], s[20:21]
	v_add_f64 v[14:15], v[80:81], v[14:15]
	v_add_f64 v[80:81], v[235:236], v[142:143]
	;; [unrolled: 1-line block ×3, first 2 shown]
	v_mul_f64 v[72:73], v[74:75], s[30:31]
	v_mul_f64 v[74:75], v[74:75], s[18:19]
	v_add_f64 v[64:65], v[64:65], v[140:141]
	v_add_f64 v[28:29], v[124:125], v[28:29]
	;; [unrolled: 1-line block ×5, first 2 shown]
	v_fma_f64 v[80:81], v[70:71], s[24:25], v[118:119]
	v_fma_f64 v[118:119], v[70:71], s[24:25], -v[118:119]
	v_fma_f64 v[120:121], v[70:71], s[34:35], v[72:73]
	v_fma_f64 v[72:73], v[70:71], s[34:35], -v[72:73]
	;; [unrolled: 2-line block ×3, first 2 shown]
	v_add_f64 v[44:45], v[64:65], v[44:45]
	v_add_f64 v[64:65], v[239:240], v[128:129]
	s_mov_b32 s17, 0xbfe58eea
	s_mov_b32 s16, s28
	v_add_f64 v[36:37], v[84:85], v[36:37]
	v_add_f64 v[40:41], v[80:81], v[40:41]
	;; [unrolled: 1-line block ×5, first 2 shown]
	v_mul_f64 v[72:73], v[62:63], s[16:17]
	v_add_f64 v[74:75], v[245:246], v[122:123]
	v_add_f64 v[80:81], v[8:9], v[136:137]
	;; [unrolled: 1-line block ×4, first 2 shown]
	v_mul_f64 v[84:85], v[62:63], s[14:15]
	v_mul_f64 v[62:63], v[62:63], s[6:7]
	v_add_f64 v[8:9], v[112:113], v[114:115]
	v_add_f64 v[70:71], v[70:71], v[76:77]
	v_fma_f64 v[76:77], v[50:51], s[26:27], v[72:73]
	v_add_f64 v[52:53], v[74:75], v[52:53]
	v_add_f64 v[36:37], v[80:81], v[36:37]
	v_fma_f64 v[72:73], v[50:51], s[26:27], -v[72:73]
	v_add_f64 v[44:45], v[64:65], v[44:45]
	v_fma_f64 v[64:65], v[50:51], s[10:11], v[84:85]
	v_fma_f64 v[74:75], v[50:51], s[10:11], -v[84:85]
	v_fma_f64 v[80:81], v[50:51], s[4:5], v[62:63]
	v_fma_f64 v[50:51], v[50:51], s[4:5], -v[62:63]
	v_add_f64 v[62:63], v[68:69], v[116:117]
	v_add_f64 v[8:9], v[8:9], v[32:33]
	buffer_load_dword v32, off, s[60:63], 0 offset:48 ; 4-byte Folded Reload
	buffer_load_dword v33, off, s[60:63], 0 offset:52 ; 4-byte Folded Reload
	v_add_f64 v[28:29], v[120:121], v[28:29]
	v_add_f64 v[12:13], v[118:119], v[12:13]
	s_mov_b32 s3, 0xbfeec746
	v_mul_f64 v[68:69], v[42:43], s[28:29]
	v_add_f64 v[14:15], v[50:51], v[14:15]
	v_add_f64 v[50:51], v[62:63], v[70:71]
	buffer_load_dword v62, off, s[60:63], 0 offset:40 ; 4-byte Folded Reload
	buffer_load_dword v63, off, s[60:63], 0 offset:44 ; 4-byte Folded Reload
	;; [unrolled: 1-line block ×4, first 2 shown]
	v_add_f64 v[28:29], v[64:65], v[28:29]
	v_mul_f64 v[64:65], v[42:43], s[14:15]
	v_add_f64 v[12:13], v[72:73], v[12:13]
	v_mul_f64 v[42:43], v[42:43], s[2:3]
	v_add_f64 v[56:57], v[56:57], v[186:187]
	v_add_f64 v[40:41], v[76:77], v[40:41]
	;; [unrolled: 1-line block ×4, first 2 shown]
	v_mov_b32_e32 v252, v253
	v_mov_b32_e32 v253, v254
	v_add_f64 v[56:57], v[152:153], v[56:57]
	v_add_f64 v[56:57], v[126:127], v[56:57]
	;; [unrolled: 1-line block ×4, first 2 shown]
	s_waitcnt vmcnt(4)
	v_add_f64 v[32:33], v[32:33], v[78:79]
	s_waitcnt vmcnt(2)
	v_add_f64 v[62:63], v[62:63], v[82:83]
	;; [unrolled: 2-line block ×3, first 2 shown]
	v_add_f64 v[32:33], v[32:33], v[52:53]
	v_fma_f64 v[52:53], v[38:39], s[10:11], -v[64:65]
	v_fma_f64 v[70:71], v[38:39], s[10:11], v[64:65]
	v_fma_f64 v[64:65], v[38:39], s[26:27], -v[68:69]
	v_add_f64 v[36:37], v[62:63], v[36:37]
	v_fma_f64 v[62:63], v[38:39], s[26:27], v[68:69]
	v_add_f64 v[44:45], v[66:67], v[44:45]
	v_fma_f64 v[66:67], v[38:39], s[0:1], v[42:43]
	v_fma_f64 v[38:39], v[38:39], s[0:1], -v[42:43]
	v_add_f64 v[12:13], v[52:53], v[12:13]
	buffer_load_dword v42, off, s[60:63], 0 offset:16 ; 4-byte Folded Reload
	buffer_load_dword v43, off, s[60:63], 0 offset:20 ; 4-byte Folded Reload
	;; [unrolled: 1-line block ×4, first 2 shown]
	v_add_f64 v[40:41], v[70:71], v[40:41]
	v_add_f64 v[28:29], v[62:63], v[28:29]
	;; [unrolled: 1-line block ×5, first 2 shown]
	v_mul_f64 v[38:39], v[26:27], s[6:7]
	s_waitcnt vmcnt(2)
	v_add_f64 v[42:43], v[42:43], v[58:59]
	s_waitcnt vmcnt(0)
	v_add_f64 v[52:53], v[52:53], v[54:55]
	buffer_load_dword v54, off, s[60:63], 0 ; 4-byte Folded Reload
	buffer_load_dword v55, off, s[60:63], 0 offset:4 ; 4-byte Folded Reload
	v_add_f64 v[8:9], v[42:43], v[8:9]
	v_mul_f64 v[42:43], v[26:27], s[2:3]
	v_mul_f64 v[26:27], v[26:27], s[20:21]
	v_add_f64 v[50:51], v[52:53], v[50:51]
	v_fma_f64 v[52:53], v[10:11], s[0:1], v[42:43]
	v_add_f64 v[28:29], v[52:53], v[28:29]
	s_waitcnt vmcnt(0)
	v_add_f64 v[46:47], v[54:55], v[46:47]
	v_add_f64 v[54:55], v[66:67], v[56:57]
	v_fma_f64 v[56:57], v[10:11], s[24:25], v[26:27]
	v_fma_f64 v[26:27], v[10:11], s[24:25], -v[26:27]
	v_add_f64 v[32:33], v[46:47], v[32:33]
	buffer_load_dword v46, off, s[60:63], 0 offset:24 ; 4-byte Folded Reload
	buffer_load_dword v47, off, s[60:63], 0 offset:28 ; 4-byte Folded Reload
	v_add_f64 v[14:15], v[26:27], v[14:15]
	v_lshl_add_u32 v26, v110, 7, v111
	s_waitcnt vmcnt(0)
	v_add_f64 v[30:31], v[46:47], v[30:31]
	v_fma_f64 v[46:47], v[10:11], s[4:5], v[38:39]
	v_fma_f64 v[38:39], v[10:11], s[4:5], -v[38:39]
	v_fma_f64 v[10:11], v[10:11], s[0:1], -v[42:43]
	v_add_f64 v[30:31], v[30:31], v[36:37]
	v_add_f64 v[36:37], v[46:47], v[40:41]
	;; [unrolled: 1-line block ×5, first 2 shown]
	ds_write2_b64 v26, v[24:25], v[8:9] offset1:1
	ds_write2_b64 v26, v[50:51], v[32:33] offset0:2 offset1:3
	ds_write2_b64 v26, v[30:31], v[34:35] offset0:4 offset1:5
	;; [unrolled: 1-line block ×7, first 2 shown]
	ds_write_b64 v26, v[243:244] offset:128
.LBB0_15:
	s_or_b64 exec, exec, s[22:23]
	s_movk_i32 s0, 0xf1
	v_add_u32_e32 v114, 0xaa, v110
	v_mul_lo_u16_sdwa v8, v110, s0 dst_sel:DWORD dst_unused:UNUSED_PAD src0_sel:BYTE_0 src1_sel:DWORD
	s_mov_b32 s0, 0xf0f1
	v_mul_u32_u24_sdwa v123, v114, s0 dst_sel:DWORD dst_unused:UNUSED_PAD src0_sel:WORD_0 src1_sel:DWORD
	v_lshrrev_b16_e32 v8, 12, v8
	v_lshrrev_b32_e32 v12, 20, v123
	v_mul_lo_u16_e32 v9, 17, v8
	v_mul_lo_u16_e32 v13, 17, v12
	v_add_u32_e32 v15, 0x154, v110
	v_sub_u16_e32 v9, v110, v9
	v_mov_b32_e32 v10, 3
	v_sub_u16_e32 v13, v114, v13
	v_mul_u32_u24_sdwa v11, v9, v10 dst_sel:DWORD dst_unused:UNUSED_PAD src0_sel:BYTE_0 src1_sel:DWORD
	v_mul_u32_u24_e32 v14, 3, v13
	v_mul_u32_u24_sdwa v124, v15, s0 dst_sel:DWORD dst_unused:UNUSED_PAD src0_sel:WORD_0 src1_sel:DWORD
	v_lshlrev_b32_e32 v11, 4, v11
	v_lshlrev_b32_e32 v14, 4, v14
	v_lshrrev_b32_e32 v125, 20, v124
	s_waitcnt lgkmcnt(0)
	s_barrier
	global_load_dwordx4 v[24:27], v11, s[8:9] offset:16
	global_load_dwordx4 v[28:31], v11, s[8:9]
	global_load_dwordx4 v[32:35], v14, s[8:9] offset:32
	global_load_dwordx4 v[36:39], v14, s[8:9] offset:16
	;; [unrolled: 1-line block ×3, first 2 shown]
	global_load_dwordx4 v[44:47], v14, s[8:9]
	v_mul_lo_u16_e32 v11, 17, v125
	v_sub_u16_e32 v126, v15, v11
	v_mul_u32_u24_e32 v11, 3, v126
	v_lshlrev_b32_e32 v11, 4, v11
	global_load_dwordx4 v[48:51], v11, s[8:9]
	global_load_dwordx4 v[52:55], v11, s[8:9] offset:16
	global_load_dwordx4 v[56:59], v11, s[8:9] offset:32
	ds_read2_b64 v[60:63], v111 offset1:170
	ds_read2_b64 v[64:67], v194 offset0:84 offset1:254
	ds_read2_b64 v[68:71], v195 offset0:60 offset1:230
	;; [unrolled: 1-line block ×5, first 2 shown]
	v_mul_u32_u24_e32 v8, 0x220, v8
	v_lshlrev_b32_sdwa v9, v10, v9 dst_sel:DWORD dst_unused:UNUSED_PAD src0_sel:DWORD src1_sel:BYTE_0
	v_mul_u32_u24_e32 v128, 0x220, v12
	v_lshlrev_b32_e32 v129, 3, v13
	v_add3_u32 v130, 0, v8, v9
	s_waitcnt vmcnt(0) lgkmcnt(0)
	s_barrier
	s_movk_i32 s1, 0x79
	v_lshrrev_b32_e32 v132, 22, v124
	v_add_u32_e32 v127, 0x1fe, v110
	s_mov_b32 s2, 0xe8584caa
	s_mov_b32 s3, 0x3febb67a
	;; [unrolled: 1-line block ×4, first 2 shown]
	v_mul_f64 v[115:116], v[80:81], v[34:35]
	v_mul_f64 v[13:14], v[68:69], v[26:27]
	;; [unrolled: 1-line block ×18, first 2 shown]
	v_fma_f64 v[8:9], v[88:89], v[28:29], -v[8:9]
	v_fma_f64 v[13:14], v[106:107], v[24:25], -v[13:14]
	v_fma_f64 v[24:25], v[68:69], v[24:25], v[26:27]
	v_fma_f64 v[26:27], v[96:97], v[40:41], -v[30:31]
	v_fma_f64 v[11:12], v[66:67], v[28:29], v[11:12]
	v_fma_f64 v[28:29], v[74:75], v[40:41], v[42:43]
	v_fma_f64 v[30:31], v[102:103], v[44:45], -v[84:85]
	v_fma_f64 v[40:41], v[76:77], v[44:45], v[46:47]
	v_fma_f64 v[42:43], v[108:109], v[36:37], -v[112:113]
	;; [unrolled: 2-line block ×5, first 2 shown]
	v_fma_f64 v[50:51], v[100:101], v[56:57], -v[121:122]
	v_fma_f64 v[48:49], v[72:73], v[52:53], v[54:55]
	v_fma_f64 v[52:53], v[82:83], v[56:57], v[58:59]
	v_add_f64 v[13:14], v[90:91], -v[13:14]
	v_add_f64 v[26:27], v[8:9], -v[26:27]
	v_add_f64 v[24:25], v[60:61], -v[24:25]
	v_add_f64 v[28:29], v[11:12], -v[28:29]
	v_add_f64 v[42:43], v[92:93], -v[42:43]
	v_add_f64 v[36:37], v[62:63], -v[36:37]
	v_add_f64 v[38:39], v[30:31], -v[38:39]
	v_add_f64 v[46:47], v[86:87], -v[46:47]
	v_add_f64 v[50:51], v[34:35], -v[50:51]
	v_add_f64 v[32:33], v[40:41], -v[32:33]
	v_add_f64 v[48:49], v[64:65], -v[48:49]
	v_add_f64 v[52:53], v[44:45], -v[52:53]
	v_fma_f64 v[54:55], v[90:91], 2.0, -v[13:14]
	v_fma_f64 v[8:9], v[8:9], 2.0, -v[26:27]
	;; [unrolled: 1-line block ×4, first 2 shown]
	v_add_f64 v[60:61], v[24:25], v[26:27]
	v_fma_f64 v[26:27], v[92:93], 2.0, -v[42:43]
	v_fma_f64 v[58:59], v[62:63], 2.0, -v[36:37]
	;; [unrolled: 1-line block ×8, first 2 shown]
	v_add_f64 v[28:29], v[13:14], -v[28:29]
	v_add_f64 v[32:33], v[42:43], -v[32:33]
	;; [unrolled: 1-line block ×4, first 2 shown]
	v_add_f64 v[66:67], v[48:49], v[50:51]
	v_add_f64 v[11:12], v[56:57], -v[11:12]
	v_fma_f64 v[68:69], v[24:25], 2.0, -v[60:61]
	v_add_f64 v[24:25], v[26:27], -v[30:31]
	v_add_f64 v[34:35], v[62:63], -v[34:35]
	v_add_f64 v[38:39], v[36:37], v[38:39]
	v_add_f64 v[30:31], v[58:59], -v[40:41]
	v_add_f64 v[44:45], v[64:65], -v[44:45]
	v_fma_f64 v[13:14], v[13:14], 2.0, -v[28:29]
	v_fma_f64 v[40:41], v[42:43], 2.0, -v[32:33]
	;; [unrolled: 1-line block ×11, first 2 shown]
	ds_write2_b64 v130, v[8:9], v[28:29] offset0:34 offset1:51
	ds_write2_b64 v130, v[46:47], v[13:14] offset1:17
	v_mul_u32_u24_e32 v9, 0x220, v125
	v_lshlrev_b32_e32 v13, 3, v126
	v_add3_u32 v8, 0, v128, v129
	v_add3_u32 v9, 0, v9, v13
	ds_write2_b64 v8, v[26:27], v[40:41] offset1:17
	ds_write2_b64 v8, v[24:25], v[32:33] offset0:34 offset1:51
	ds_write2_b64 v9, v[48:49], v[42:43] offset1:17
	ds_write2_b64 v9, v[34:35], v[52:53] offset0:34 offset1:51
	s_waitcnt lgkmcnt(0)
	s_barrier
	ds_read2_b64 v[24:27], v111 offset1:170
	ds_read2_b64 v[32:35], v198 offset0:40 offset1:210
	ds_read2_b64 v[40:43], v196 offset0:80 offset1:250
	;; [unrolled: 1-line block ×5, first 2 shown]
	s_waitcnt lgkmcnt(0)
	s_barrier
	ds_write2_b64 v130, v[72:73], v[68:69] offset1:17
	ds_write2_b64 v130, v[11:12], v[60:61] offset0:34 offset1:51
	ds_write2_b64 v8, v[74:75], v[36:37] offset1:17
	ds_write2_b64 v8, v[30:31], v[38:39] offset0:34 offset1:51
	;; [unrolled: 2-line block ×3, first 2 shown]
	v_mul_lo_u16_sdwa v8, v110, s1 dst_sel:DWORD dst_unused:UNUSED_PAD src0_sel:BYTE_0 src1_sel:DWORD
	v_lshrrev_b16_e32 v128, 13, v8
	v_mul_lo_u16_e32 v8, 0x44, v128
	v_sub_u16_e32 v129, v110, v8
	v_mov_b32_e32 v8, 5
	v_lshlrev_b32_sdwa v8, v8, v129 dst_sel:DWORD dst_unused:UNUSED_PAD src0_sel:DWORD src1_sel:BYTE_0
	v_lshrrev_b32_e32 v130, 22, v123
	s_waitcnt lgkmcnt(0)
	s_barrier
	global_load_dwordx4 v[44:47], v8, s[8:9] offset:832
	global_load_dwordx4 v[60:63], v8, s[8:9] offset:816
	v_mul_lo_u16_e32 v8, 0x44, v130
	v_sub_u16_e32 v131, v114, v8
	v_lshlrev_b32_e32 v8, 5, v131
	global_load_dwordx4 v[64:67], v8, s[8:9] offset:832
	global_load_dwordx4 v[68:71], v8, s[8:9] offset:816
	v_mul_lo_u16_e32 v8, 0x44, v132
	v_sub_u16_e32 v133, v15, v8
	v_lshlrev_b32_e32 v8, 5, v133
	global_load_dwordx4 v[74:77], v8, s[8:9] offset:832
	global_load_dwordx4 v[90:93], v8, s[8:9] offset:816
	v_mul_u32_u24_sdwa v8, v127, s0 dst_sel:DWORD dst_unused:UNUSED_PAD src0_sel:WORD_0 src1_sel:DWORD
	v_lshrrev_b32_e32 v134, 22, v8
	v_mul_lo_u16_e32 v8, 0x44, v134
	v_sub_u16_e32 v127, v127, v8
	v_lshlrev_b32_e32 v8, 5, v127
	global_load_dwordx4 v[94:97], v8, s[8:9] offset:816
	global_load_dwordx4 v[98:101], v8, s[8:9] offset:832
	ds_read2_b64 v[36:39], v111 offset1:170
	ds_read2_b64 v[78:81], v198 offset0:40 offset1:210
	ds_read2_b64 v[102:105], v196 offset0:80 offset1:250
	;; [unrolled: 1-line block ×5, first 2 shown]
	v_lshlrev_b32_sdwa v10, v10, v129 dst_sel:DWORD dst_unused:UNUSED_PAD src0_sel:DWORD src1_sel:BYTE_0
	s_waitcnt vmcnt(0) lgkmcnt(0)
	s_barrier
	v_cmp_gt_u32_e64 s[0:1], 34, v110
	v_mul_f64 v[13:14], v[102:103], v[46:47]
	v_mul_f64 v[8:9], v[78:79], v[62:63]
	;; [unrolled: 1-line block ×10, first 2 shown]
	v_fma_f64 v[82:83], v[32:33], v[60:61], -v[8:9]
	v_fma_f64 v[86:87], v[40:41], v[44:45], -v[13:14]
	v_mul_f64 v[92:93], v[52:53], v[92:93]
	v_mul_f64 v[121:122], v[56:57], v[76:77]
	;; [unrolled: 1-line block ×6, first 2 shown]
	v_fma_f64 v[88:89], v[78:79], v[60:61], v[11:12]
	v_fma_f64 v[44:45], v[102:103], v[44:45], v[46:47]
	v_fma_f64 v[78:79], v[34:35], v[68:69], -v[62:63]
	v_fma_f64 v[84:85], v[80:81], v[68:69], v[70:71]
	v_fma_f64 v[80:81], v[42:43], v[64:65], -v[72:73]
	;; [unrolled: 2-line block ×3, first 2 shown]
	v_fma_f64 v[72:73], v[56:57], v[74:75], -v[119:120]
	v_add_f64 v[8:9], v[82:83], v[86:87]
	v_fma_f64 v[64:65], v[54:55], v[94:95], -v[123:124]
	v_fma_f64 v[66:67], v[58:59], v[98:99], -v[125:126]
	v_fma_f64 v[76:77], v[106:107], v[90:91], v[92:93]
	v_fma_f64 v[46:47], v[115:116], v[74:75], v[121:122]
	;; [unrolled: 1-line block ×3, first 2 shown]
	v_add_f64 v[32:33], v[88:89], -v[44:45]
	v_add_f64 v[34:35], v[78:79], v[80:81]
	v_fma_f64 v[8:9], v[8:9], -0.5, v[24:25]
	v_fma_f64 v[70:71], v[117:118], v[98:99], v[100:101]
	v_add_f64 v[40:41], v[68:69], v[72:73]
	v_add_f64 v[52:53], v[64:65], v[66:67]
	;; [unrolled: 1-line block ×4, first 2 shown]
	v_add_f64 v[42:43], v[84:85], -v[14:15]
	v_fma_f64 v[26:27], v[34:35], -0.5, v[26:27]
	v_fma_f64 v[34:35], v[32:33], s[2:3], v[8:9]
	v_fma_f64 v[8:9], v[32:33], s[4:5], v[8:9]
	v_add_f64 v[32:33], v[48:49], v[68:69]
	v_fma_f64 v[40:41], v[40:41], -0.5, v[48:49]
	v_add_f64 v[48:49], v[76:77], -v[46:47]
	v_add_f64 v[54:55], v[50:51], v[64:65]
	v_fma_f64 v[50:51], v[52:53], -0.5, v[50:51]
	v_add_f64 v[52:53], v[74:75], -v[70:71]
	v_add_f64 v[11:12], v[11:12], v[86:87]
	v_add_f64 v[56:57], v[24:25], v[80:81]
	v_fma_f64 v[58:59], v[42:43], s[2:3], v[26:27]
	v_add_f64 v[32:33], v[32:33], v[72:73]
	v_fma_f64 v[60:61], v[48:49], s[2:3], v[40:41]
	v_fma_f64 v[40:41], v[48:49], s[4:5], v[40:41]
	v_add_f64 v[48:49], v[54:55], v[66:67]
	v_fma_f64 v[24:25], v[52:53], s[2:3], v[50:51]
	v_fma_f64 v[42:43], v[42:43], s[4:5], v[26:27]
	;; [unrolled: 1-line block ×3, first 2 shown]
	v_mul_u32_u24_e32 v13, 0x660, v128
	v_add3_u32 v90, 0, v13, v10
	ds_write2_b64 v90, v[11:12], v[34:35] offset1:68
	ds_write_b64 v90, v[8:9] offset:1088
	v_mul_u32_u24_e32 v8, 0x660, v130
	v_lshlrev_b32_e32 v9, 3, v131
	v_add3_u32 v91, 0, v8, v9
	v_mul_u32_u24_e32 v8, 0x660, v132
	v_lshlrev_b32_e32 v9, 3, v133
	v_add3_u32 v92, 0, v8, v9
	v_mul_u32_u24_e32 v8, 0x660, v134
	v_lshlrev_b32_e32 v9, 3, v127
	v_add3_u32 v93, 0, v8, v9
	v_add_u32_e32 v94, 0xc00, v111
	v_add_u32_e32 v95, 0x1800, v111
	;; [unrolled: 1-line block ×4, first 2 shown]
	ds_write2_b64 v91, v[56:57], v[58:59] offset1:68
	ds_write_b64 v91, v[42:43] offset:1088
	ds_write2_b64 v92, v[32:33], v[60:61] offset1:68
	ds_write_b64 v92, v[40:41] offset:1088
	;; [unrolled: 2-line block ×3, first 2 shown]
	s_waitcnt lgkmcnt(0)
	s_barrier
	ds_read2_b64 v[40:43], v111 offset1:204
	ds_read2_b64 v[48:51], v94 offset0:24 offset1:228
	ds_read2_b64 v[52:55], v95 offset0:48 offset1:252
	;; [unrolled: 1-line block ×4, first 2 shown]
                                        ; implicit-def: $vgpr34_vgpr35
	s_and_saveexec_b64 s[6:7], s[0:1]
	s_cbranch_execz .LBB0_17
; %bb.16:
	v_add_u32_e32 v0, 0x400, v111
	ds_read2_b64 v[24:27], v0 offset0:42 offset1:246
	v_add_u32_e32 v0, 0x1200, v111
	v_add_u32_e32 v8, 0x2a00, v111
	ds_read2_b64 v[4:7], v0 offset0:2 offset1:206
	v_add_u32_e32 v0, 0x1e00, v111
	ds_read2_b64 v[199:202], v8 offset0:50 offset1:254
	;; [unrolled: 2-line block ×3, first 2 shown]
	ds_read2_b64 v[32:35], v8 offset0:10 offset1:214
.LBB0_17:
	s_or_b64 exec, exec, s[6:7]
	v_add_f64 v[8:9], v[88:89], v[44:45]
	v_add_f64 v[12:13], v[82:83], -v[86:87]
	v_add_f64 v[82:83], v[38:39], v[84:85]
	v_add_f64 v[84:85], v[84:85], v[14:15]
	v_add_f64 v[78:79], v[78:79], -v[80:81]
	v_add_f64 v[80:81], v[76:77], v[46:47]
	v_add_f64 v[10:11], v[36:37], v[88:89]
	v_add_f64 v[68:69], v[68:69], -v[72:73]
	v_fma_f64 v[8:9], v[8:9], -0.5, v[36:37]
	v_add_f64 v[36:37], v[28:29], v[76:77]
	v_add_f64 v[76:77], v[74:75], v[70:71]
	v_fma_f64 v[38:39], v[84:85], -0.5, v[38:39]
	v_add_f64 v[72:73], v[30:31], v[74:75]
	v_fma_f64 v[28:29], v[80:81], -0.5, v[28:29]
	v_add_f64 v[10:11], v[10:11], v[44:45]
	v_add_f64 v[14:15], v[82:83], v[14:15]
	v_fma_f64 v[44:45], v[12:13], s[4:5], v[8:9]
	v_fma_f64 v[8:9], v[12:13], s[2:3], v[8:9]
	v_fma_f64 v[12:13], v[76:77], -0.5, v[30:31]
	v_add_f64 v[30:31], v[64:65], -v[66:67]
	v_fma_f64 v[64:65], v[78:79], s[4:5], v[38:39]
	v_fma_f64 v[38:39], v[78:79], s[2:3], v[38:39]
	v_add_f64 v[36:37], v[36:37], v[46:47]
	v_fma_f64 v[46:47], v[68:69], s[4:5], v[28:29]
	v_fma_f64 v[66:67], v[68:69], s[2:3], v[28:29]
	v_add_f64 v[68:69], v[72:73], v[70:71]
	s_waitcnt lgkmcnt(0)
	v_fma_f64 v[28:29], v[30:31], s[4:5], v[12:13]
	v_fma_f64 v[30:31], v[30:31], s[2:3], v[12:13]
	s_barrier
	ds_write2_b64 v90, v[10:11], v[44:45] offset1:68
	ds_write_b64 v90, v[8:9] offset:1088
	ds_write2_b64 v91, v[14:15], v[64:65] offset1:68
	ds_write_b64 v91, v[38:39] offset:1088
	;; [unrolled: 2-line block ×4, first 2 shown]
	s_waitcnt lgkmcnt(0)
	s_barrier
	ds_read2_b64 v[44:47], v111 offset1:204
	ds_read2_b64 v[72:75], v94 offset0:24 offset1:228
	ds_read2_b64 v[64:67], v95 offset0:48 offset1:252
	;; [unrolled: 1-line block ×4, first 2 shown]
                                        ; implicit-def: $vgpr38_vgpr39
	s_and_saveexec_b64 s[2:3], s[0:1]
	s_cbranch_execz .LBB0_19
; %bb.18:
	v_add_u32_e32 v8, 0x400, v111
	ds_read2_b64 v[28:31], v8 offset0:42 offset1:246
	v_add_u32_e32 v8, 0x1200, v111
	ds_read2_b64 v[20:23], v8 offset0:2 offset1:206
	;; [unrolled: 2-line block ×5, first 2 shown]
.LBB0_19:
	s_or_b64 exec, exec, s[2:3]
	s_and_saveexec_b64 s[2:3], vcc
	s_cbranch_execz .LBB0_22
; %bb.20:
	v_mul_u32_u24_e32 v8, 9, v110
	v_lshlrev_b32_e32 v8, 4, v8
	global_load_dwordx4 v[80:83], v8, s[8:9] offset:3008
	global_load_dwordx4 v[84:87], v8, s[8:9] offset:3040
	;; [unrolled: 1-line block ×9, first 2 shown]
	s_mov_b32 s4, 0x134454ff
	s_mov_b32 s5, 0x3fee6f0e
	;; [unrolled: 1-line block ×12, first 2 shown]
	s_waitcnt vmcnt(8)
	v_mul_f64 v[8:9], v[48:49], v[82:83]
	s_waitcnt vmcnt(7)
	v_mul_f64 v[10:11], v[52:53], v[86:87]
	;; [unrolled: 2-line block ×4, first 2 shown]
	s_waitcnt vmcnt(4) lgkmcnt(3)
	v_mul_f64 v[108:109], v[74:75], v[98:99]
	s_waitcnt vmcnt(3) lgkmcnt(2)
	v_mul_f64 v[111:112], v[66:67], v[102:103]
	;; [unrolled: 2-line block ×3, first 2 shown]
	s_waitcnt vmcnt(1)
	v_mul_f64 v[125:126], v[70:71], v[117:118]
	v_mul_f64 v[102:103], v[54:55], v[102:103]
	;; [unrolled: 1-line block ×7, first 2 shown]
	s_waitcnt vmcnt(0)
	v_mul_f64 v[127:128], v[46:47], v[121:122]
	v_mul_f64 v[98:99], v[50:51], v[98:99]
	;; [unrolled: 1-line block ×4, first 2 shown]
	v_fma_f64 v[8:9], v[72:73], v[80:81], v[8:9]
	v_fma_f64 v[10:11], v[64:65], v[84:85], v[10:11]
	;; [unrolled: 1-line block ×4, first 2 shown]
	v_fma_f64 v[50:51], v[50:51], v[96:97], -v[108:109]
	v_fma_f64 v[64:65], v[54:55], v[100:101], -v[111:112]
	;; [unrolled: 1-line block ×4, first 2 shown]
	v_fma_f64 v[58:59], v[66:67], v[100:101], v[102:103]
	v_fma_f64 v[66:67], v[70:71], v[115:116], v[117:118]
	v_fma_f64 v[52:53], v[52:53], v[84:85], -v[86:87]
	v_fma_f64 v[48:49], v[48:49], v[80:81], -v[82:83]
	;; [unrolled: 1-line block ×4, first 2 shown]
	v_fma_f64 v[54:55], v[74:75], v[96:97], v[98:99]
	v_fma_f64 v[72:73], v[78:79], v[104:105], v[106:107]
	v_fma_f64 v[46:47], v[46:47], v[119:120], v[121:122]
	v_add_f64 v[70:71], v[8:9], -v[10:11]
	v_add_f64 v[74:75], v[12:13], -v[14:15]
	v_add_f64 v[78:79], v[10:11], v[14:15]
	v_add_f64 v[82:83], v[50:51], -v[64:65]
	v_add_f64 v[84:85], v[62:63], -v[68:69]
	v_add_f64 v[86:87], v[64:65], v[68:69]
	v_add_f64 v[98:99], v[58:59], v[66:67]
	v_fma_f64 v[56:57], v[56:57], v[92:93], -v[94:95]
	v_add_f64 v[80:81], v[48:49], -v[60:61]
	v_add_f64 v[88:89], v[54:55], -v[72:73]
	;; [unrolled: 1-line block ×5, first 2 shown]
	v_add_f64 v[106:107], v[8:9], v[12:13]
	v_add_f64 v[108:109], v[64:65], -v[50:51]
	v_add_f64 v[111:112], v[68:69], -v[62:63]
	v_add_f64 v[115:116], v[50:51], v[62:63]
	v_add_f64 v[117:118], v[58:59], -v[54:55]
	v_add_f64 v[121:122], v[54:55], v[72:73]
	v_add_f64 v[123:124], v[44:45], v[8:9]
	;; [unrolled: 1-line block ×4, first 2 shown]
	v_fma_f64 v[74:75], v[78:79], -0.5, v[44:45]
	v_add_f64 v[78:79], v[82:83], v[84:85]
	v_fma_f64 v[82:83], v[86:87], -0.5, v[42:43]
	v_fma_f64 v[86:87], v[98:99], -0.5, v[46:47]
	v_add_f64 v[76:77], v[52:53], -v[56:57]
	v_add_f64 v[90:91], v[58:59], -v[66:67]
	;; [unrolled: 1-line block ×7, first 2 shown]
	v_add_f64 v[84:85], v[92:93], v[94:95]
	v_fma_f64 v[44:45], v[106:107], -0.5, v[44:45]
	v_add_f64 v[94:95], v[108:109], v[111:112]
	v_fma_f64 v[98:99], v[115:116], -0.5, v[42:43]
	v_fma_f64 v[46:47], v[121:122], -0.5, v[46:47]
	v_add_f64 v[10:11], v[123:124], v[10:11]
	v_add_f64 v[54:55], v[58:59], v[54:55]
	v_fma_f64 v[58:59], v[80:81], s[4:5], v[74:75]
	v_fma_f64 v[106:107], v[88:89], s[10:11], v[82:83]
	;; [unrolled: 1-line block ×3, first 2 shown]
	v_add_f64 v[129:130], v[52:53], v[56:57]
	v_add_f64 v[92:93], v[102:103], v[104:105]
	v_add_f64 v[102:103], v[117:118], v[119:120]
	v_fma_f64 v[111:112], v[76:77], s[10:11], v[44:45]
	v_fma_f64 v[115:116], v[90:91], s[4:5], v[98:99]
	;; [unrolled: 1-line block ×7, first 2 shown]
	v_add_f64 v[10:11], v[10:11], v[14:15]
	v_fma_f64 v[14:15], v[76:77], s[6:7], v[58:59]
	v_fma_f64 v[58:59], v[90:91], s[14:15], v[106:107]
	;; [unrolled: 1-line block ×4, first 2 shown]
	v_add_f64 v[8:9], v[8:9], -v[12:13]
	v_add_f64 v[133:134], v[48:49], v[60:61]
	v_fma_f64 v[104:105], v[129:130], -0.5, v[40:41]
	v_fma_f64 v[82:83], v[88:89], s[4:5], v[82:83]
	v_fma_f64 v[108:109], v[100:101], s[6:7], v[117:118]
	;; [unrolled: 1-line block ×11, first 2 shown]
	v_add_f64 v[66:67], v[66:67], v[54:55]
	v_fma_f64 v[82:83], v[90:91], s[6:7], v[82:83]
	v_fma_f64 v[90:91], v[102:103], s[2:3], v[108:109]
	;; [unrolled: 1-line block ×4, first 2 shown]
	v_mul_f64 v[58:59], v[88:89], s[16:17]
	v_fma_f64 v[14:15], v[70:71], s[2:3], v[14:15]
	v_fma_f64 v[94:95], v[92:93], s[2:3], v[111:112]
	;; [unrolled: 1-line block ×6, first 2 shown]
	v_fma_f64 v[70:71], v[133:134], -0.5, v[40:41]
	v_add_f64 v[40:41], v[40:41], v[48:49]
	v_add_f64 v[42:43], v[50:51], v[42:43]
	;; [unrolled: 1-line block ×3, first 2 shown]
	v_mul_f64 v[66:67], v[86:87], s[16:17]
	v_add_f64 v[125:126], v[48:49], -v[52:53]
	v_fma_f64 v[76:77], v[84:85], s[2:3], v[76:77]
	v_mul_f64 v[84:85], v[80:81], s[10:11]
	v_fma_f64 v[100:101], v[86:87], s[14:15], -v[58:59]
	v_fma_f64 v[74:75], v[131:132], s[14:15], v[102:103]
	v_add_f64 v[86:87], v[52:53], -v[48:49]
	v_add_f64 v[102:103], v[56:57], -v[60:61]
	v_fma_f64 v[48:49], v[131:132], s[4:5], v[70:71]
	v_fma_f64 v[50:51], v[131:132], s[10:11], v[70:71]
	v_add_f64 v[40:41], v[40:41], v[52:53]
	v_add_f64 v[42:43], v[64:65], v[42:43]
	v_add_f64 v[127:128], v[60:61], -v[56:57]
	v_fma_f64 v[78:79], v[78:79], s[2:3], v[82:83]
	v_fma_f64 v[88:89], v[88:89], s[6:7], -v[66:67]
	v_fma_f64 v[66:67], v[8:9], s[4:5], v[104:105]
	v_mul_f64 v[82:83], v[90:91], s[2:3]
	v_fma_f64 v[84:85], v[46:47], s[2:3], v[84:85]
	v_add_f64 v[70:71], v[86:87], v[102:103]
	v_fma_f64 v[48:49], v[8:9], s[14:15], v[48:49]
	v_fma_f64 v[8:9], v[8:9], s[6:7], v[50:51]
	v_mul_f64 v[46:47], v[46:47], s[4:5]
	v_add_f64 v[40:41], v[40:41], v[56:57]
	v_add_f64 v[42:43], v[68:69], v[42:43]
	v_mul_f64 v[98:99], v[78:79], s[14:15]
	v_add_f64 v[10:11], v[12:13], v[10:11]
	v_add_f64 v[12:13], v[125:126], v[127:128]
	v_mul_f64 v[52:53], v[96:97], s[2:3]
	v_fma_f64 v[50:51], v[131:132], s[6:7], v[66:67]
	v_mul_f64 v[64:65], v[76:77], s[6:7]
	v_fma_f64 v[82:83], v[96:97], s[10:11], -v[82:83]
	v_fma_f64 v[8:9], v[70:71], s[2:3], v[8:9]
	v_fma_f64 v[80:81], v[80:81], s[2:3], v[46:47]
	v_add_f64 v[40:41], v[60:61], v[40:41]
	v_add_f64 v[42:43], v[62:63], v[42:43]
	v_fma_f64 v[98:99], v[76:77], s[16:17], v[98:99]
	v_fma_f64 v[106:107], v[12:13], s[2:3], v[74:75]
	;; [unrolled: 1-line block ×3, first 2 shown]
	v_fma_f64 v[86:87], v[90:91], s[4:5], -v[52:53]
	v_fma_f64 v[12:13], v[12:13], s[2:3], v[50:51]
	v_fma_f64 v[90:91], v[78:79], s[16:17], v[64:65]
	v_add_f64 v[58:59], v[94:95], -v[82:83]
	v_add_f64 v[62:63], v[44:45], -v[84:85]
	v_add_f64 v[60:61], v[8:9], -v[80:81]
	v_add_f64 v[74:75], v[94:95], v[82:83]
	v_add_f64 v[46:47], v[44:45], v[84:85]
	;; [unrolled: 1-line block ×5, first 2 shown]
	v_add_f64 v[50:51], v[10:11], -v[72:73]
	v_add_f64 v[56:57], v[76:77], -v[86:87]
	v_add_f64 v[78:79], v[92:93], v[98:99]
	v_add_f64 v[72:73], v[76:77], v[86:87]
	v_add_f64 v[76:77], v[12:13], v[90:91]
	v_mov_b32_e32 v111, 0
	v_mov_b32_e32 v8, s13
	v_add_co_u32_e32 v10, vcc, s12, v252
	v_addc_co_u32_e32 v11, vcc, v8, v253, vcc
	v_lshlrev_b64 v[8:9], 4, v[110:111]
	v_add_f64 v[48:49], v[40:41], -v[42:43]
	v_add_f64 v[70:71], v[14:15], v[100:101]
	v_add_f64 v[68:69], v[106:107], v[88:89]
	v_add_co_u32_e32 v40, vcc, v10, v8
	v_addc_co_u32_e32 v41, vcc, v11, v9, vcc
	s_movk_i32 s12, 0x1000
	v_add_co_u32_e32 v42, vcc, s12, v40
	v_addc_co_u32_e32 v43, vcc, 0, v41, vcc
	s_movk_i32 s12, 0x2000
	global_store_dwordx4 v[40:41], v[80:83], off
	global_store_dwordx4 v[40:41], v[76:79], off offset:3264
	global_store_dwordx4 v[42:43], v[44:47], off offset:2432
	v_add_f64 v[54:55], v[14:15], -v[100:101]
	v_add_co_u32_e32 v44, vcc, s12, v40
	v_addc_co_u32_e32 v45, vcc, 0, v41, vcc
	s_movk_i32 s12, 0x3000
	v_add_co_u32_e32 v46, vcc, s12, v40
	v_addc_co_u32_e32 v47, vcc, 0, v41, vcc
	s_movk_i32 s12, 0x4000
	v_add_f64 v[66:67], v[92:93], -v[98:99]
	v_add_f64 v[52:53], v[106:107], -v[88:89]
	;; [unrolled: 1-line block ×3, first 2 shown]
	global_store_dwordx4 v[44:45], v[72:75], off offset:1600
	global_store_dwordx4 v[46:47], v[68:71], off offset:768
	;; [unrolled: 1-line block ×3, first 2 shown]
	s_nop 0
	v_add_co_u32_e32 v48, vcc, s12, v40
	v_addc_co_u32_e32 v49, vcc, 0, v41, vcc
	s_movk_i32 s12, 0x5000
	v_add_co_u32_e32 v50, vcc, s12, v40
	v_addc_co_u32_e32 v51, vcc, 0, v41, vcc
	v_add_co_u32_e32 v8, vcc, 0x6000, v40
	v_addc_co_u32_e32 v9, vcc, 0, v41, vcc
	global_store_dwordx4 v[8:9], v[56:59], off offset:1536
	v_add_co_u32_e32 v8, vcc, 0x7000, v40
	v_addc_co_u32_e32 v9, vcc, 0, v41, vcc
	global_store_dwordx4 v[48:49], v[64:67], off offset:3200
	global_store_dwordx4 v[50:51], v[60:63], off offset:2368
	;; [unrolled: 1-line block ×3, first 2 shown]
	s_and_b64 exec, exec, s[0:1]
	s_cbranch_execz .LBB0_22
; %bb.21:
	v_subrev_u32_e32 v8, 34, v110
	v_cndmask_b32_e64 v8, v8, v114, s[0:1]
	v_mul_i32_i24_e32 v110, 9, v8
	v_lshlrev_b64 v[8:9], 4, v[110:111]
	v_mov_b32_e32 v10, s9
	v_add_co_u32_e32 v8, vcc, s8, v8
	v_addc_co_u32_e32 v9, vcc, v10, v9, vcc
	global_load_dwordx4 v[52:55], v[8:9], off offset:2992
	global_load_dwordx4 v[56:59], v[8:9], off offset:3008
	;; [unrolled: 1-line block ×9, first 2 shown]
	s_waitcnt vmcnt(8)
	v_mul_f64 v[8:9], v[30:31], v[54:55]
	v_mul_f64 v[10:11], v[26:27], v[54:55]
	s_waitcnt vmcnt(7)
	v_mul_f64 v[12:13], v[20:21], v[58:59]
	v_mul_f64 v[14:15], v[4:5], v[58:59]
	;; [unrolled: 3-line block ×6, first 2 shown]
	v_mul_f64 v[88:89], v[18:19], v[70:71]
	v_mul_f64 v[70:71], v[2:3], v[70:71]
	v_fma_f64 v[8:9], v[26:27], v[52:53], -v[8:9]
	v_fma_f64 v[4:5], v[4:5], v[56:57], -v[12:13]
	v_fma_f64 v[12:13], v[20:21], v[56:57], v[14:15]
	v_fma_f64 v[14:15], v[22:23], v[60:61], v[58:59]
	v_fma_f64 v[0:1], v[0:1], v[64:65], -v[62:63]
	v_fma_f64 v[16:17], v[16:17], v[64:65], v[66:67]
	v_fma_f64 v[20:21], v[199:200], v[72:73], -v[90:91]
	v_fma_f64 v[22:23], v[243:244], v[72:73], v[74:75]
	v_fma_f64 v[26:27], v[36:37], v[80:81], v[82:83]
	v_fma_f64 v[32:33], v[32:33], v[80:81], -v[94:95]
	v_mul_f64 v[92:93], v[245:246], v[78:79]
	v_mul_f64 v[78:79], v[201:202], v[78:79]
	s_waitcnt vmcnt(0)
	v_mul_f64 v[96:97], v[38:39], v[86:87]
	v_mul_f64 v[86:87], v[34:35], v[86:87]
	v_fma_f64 v[10:11], v[30:31], v[52:53], v[10:11]
	v_fma_f64 v[6:7], v[6:7], v[60:61], -v[54:55]
	v_fma_f64 v[18:19], v[18:19], v[68:69], v[70:71]
	v_add_f64 v[52:53], v[24:25], v[4:5]
	v_add_f64 v[54:55], v[0:1], v[20:21]
	v_add_f64 v[60:61], v[4:5], -v[0:1]
	v_add_f64 v[62:63], v[32:33], -v[20:21]
	v_add_f64 v[64:65], v[4:5], v[32:33]
	v_add_f64 v[70:71], v[28:29], v[12:13]
	v_add_f64 v[72:73], v[16:17], v[22:23]
	v_add_f64 v[80:81], v[12:13], v[26:27]
	v_fma_f64 v[2:3], v[2:3], v[68:69], -v[88:89]
	v_fma_f64 v[30:31], v[201:202], v[76:77], -v[92:93]
	v_fma_f64 v[36:37], v[245:246], v[76:77], v[78:79]
	v_fma_f64 v[34:35], v[34:35], v[84:85], -v[96:97]
	v_fma_f64 v[38:39], v[38:39], v[84:85], v[86:87]
	v_add_f64 v[56:57], v[12:13], -v[26:27]
	v_add_f64 v[58:59], v[16:17], -v[22:23]
	;; [unrolled: 1-line block ×8, first 2 shown]
	v_add_f64 v[84:85], v[8:9], v[6:7]
	v_add_f64 v[0:1], v[52:53], v[0:1]
	v_fma_f64 v[52:53], v[54:55], -0.5, v[24:25]
	v_add_f64 v[54:55], v[60:61], v[62:63]
	v_fma_f64 v[24:25], v[64:65], -0.5, v[24:25]
	;; [unrolled: 2-line block ×3, first 2 shown]
	v_fma_f64 v[28:29], v[80:81], -0.5, v[28:29]
	v_add_f64 v[68:69], v[20:21], -v[32:33]
	v_add_f64 v[82:83], v[22:23], -v[26:27]
	v_add_f64 v[86:87], v[2:3], v[30:31]
	v_add_f64 v[92:93], v[6:7], -v[2:3]
	v_add_f64 v[98:99], v[2:3], -v[6:7]
	v_add_f64 v[102:103], v[18:19], v[36:37]
	v_add_f64 v[104:105], v[2:3], -v[30:31]
	v_add_f64 v[64:65], v[76:77], v[78:79]
	v_add_f64 v[2:3], v[84:85], v[2:3]
	;; [unrolled: 1-line block ×3, first 2 shown]
	v_fma_f64 v[20:21], v[56:57], s[4:5], v[52:53]
	v_fma_f64 v[52:53], v[56:57], s[10:11], v[52:53]
	v_fma_f64 v[76:77], v[58:59], s[10:11], v[24:25]
	v_fma_f64 v[24:25], v[58:59], s[4:5], v[24:25]
	v_add_f64 v[16:17], v[16:17], v[22:23]
	v_fma_f64 v[22:23], v[4:5], s[10:11], v[62:63]
	v_fma_f64 v[78:79], v[74:75], s[4:5], v[28:29]
	;; [unrolled: 1-line block ×3, first 2 shown]
	v_add_f64 v[96:97], v[6:7], v[34:35]
	v_add_f64 v[6:7], v[6:7], -v[34:35]
	v_add_f64 v[12:13], v[12:13], v[82:83]
	v_fma_f64 v[70:71], v[102:103], -0.5, v[10:11]
	v_fma_f64 v[62:63], v[4:5], s[4:5], v[62:63]
	v_add_f64 v[2:3], v[2:3], v[30:31]
	v_add_f64 v[32:33], v[0:1], v[32:33]
	v_fma_f64 v[0:1], v[58:59], s[6:7], v[20:21]
	v_fma_f64 v[20:21], v[58:59], s[14:15], v[52:53]
	;; [unrolled: 1-line block ×4, first 2 shown]
	v_add_f64 v[26:27], v[16:17], v[26:27]
	v_fma_f64 v[16:17], v[74:75], s[14:15], v[22:23]
	v_fma_f64 v[56:57], v[4:5], s[14:15], v[78:79]
	;; [unrolled: 1-line block ×3, first 2 shown]
	v_add_f64 v[88:89], v[14:15], -v[38:39]
	v_add_f64 v[106:107], v[14:15], v[38:39]
	v_add_f64 v[60:61], v[66:67], v[68:69]
	v_fma_f64 v[66:67], v[86:87], -0.5, v[8:9]
	v_add_f64 v[90:91], v[18:19], -v[36:37]
	v_add_f64 v[94:95], v[34:35], -v[30:31]
	;; [unrolled: 1-line block ×3, first 2 shown]
	v_fma_f64 v[8:9], v[96:97], -0.5, v[8:9]
	v_fma_f64 v[22:23], v[74:75], s[6:7], v[62:63]
	v_add_f64 v[28:29], v[2:3], v[34:35]
	v_fma_f64 v[34:35], v[54:55], s[2:3], v[20:21]
	v_fma_f64 v[58:59], v[64:65], s[2:3], v[16:17]
	;; [unrolled: 1-line block ×5, first 2 shown]
	v_add_f64 v[16:17], v[14:15], -v[18:19]
	v_add_f64 v[20:21], v[38:39], -v[36:37]
	v_fma_f64 v[72:73], v[106:107], -0.5, v[10:11]
	v_fma_f64 v[30:31], v[88:89], s[4:5], v[66:67]
	v_add_f64 v[10:11], v[10:11], v[14:15]
	v_fma_f64 v[4:5], v[90:91], s[10:11], v[8:9]
	v_fma_f64 v[8:9], v[90:91], s[4:5], v[8:9]
	;; [unrolled: 1-line block ×4, first 2 shown]
	v_add_f64 v[16:17], v[16:17], v[20:21]
	v_add_f64 v[14:15], v[18:19], -v[14:15]
	v_fma_f64 v[2:3], v[90:91], s[6:7], v[30:31]
	v_fma_f64 v[30:31], v[54:55], s[2:3], v[0:1]
	;; [unrolled: 1-line block ×5, first 2 shown]
	v_add_f64 v[64:65], v[36:37], -v[38:39]
	v_fma_f64 v[20:21], v[104:105], s[10:11], v[72:73]
	v_fma_f64 v[66:67], v[88:89], s[10:11], v[66:67]
	v_add_f64 v[10:11], v[10:11], v[18:19]
	v_fma_f64 v[18:19], v[6:7], s[4:5], v[70:71]
	v_add_f64 v[68:69], v[92:93], v[94:95]
	v_add_f64 v[22:23], v[98:99], v[100:101]
	v_fma_f64 v[8:9], v[88:89], s[14:15], v[8:9]
	v_fma_f64 v[4:5], v[88:89], s[6:7], v[4:5]
	;; [unrolled: 1-line block ×4, first 2 shown]
	v_add_f64 v[14:15], v[14:15], v[64:65]
	v_fma_f64 v[6:7], v[6:7], s[6:7], v[20:21]
	v_fma_f64 v[0:1], v[90:91], s[14:15], v[66:67]
	v_add_f64 v[10:11], v[10:11], v[36:37]
	v_fma_f64 v[18:19], v[104:105], s[6:7], v[18:19]
	v_fma_f64 v[2:3], v[68:69], s[2:3], v[2:3]
	;; [unrolled: 1-line block ×4, first 2 shown]
	v_mul_f64 v[22:23], v[12:13], s[6:7]
	v_fma_f64 v[24:25], v[14:15], s[2:3], v[24:25]
	v_fma_f64 v[6:7], v[14:15], s[2:3], v[6:7]
	;; [unrolled: 1-line block ×3, first 2 shown]
	v_add_f64 v[38:39], v[10:11], v[38:39]
	v_fma_f64 v[10:11], v[16:17], s[2:3], v[18:19]
	v_mul_f64 v[16:17], v[8:9], s[2:3]
	v_mul_f64 v[36:37], v[4:5], s[10:11]
	v_fma_f64 v[22:23], v[2:3], s[16:17], v[22:23]
	v_mul_f64 v[2:3], v[2:3], s[14:15]
	v_mul_f64 v[14:15], v[24:25], s[4:5]
	;; [unrolled: 1-line block ×5, first 2 shown]
	v_fma_f64 v[70:71], v[6:7], s[4:5], -v[16:17]
	v_fma_f64 v[76:77], v[24:25], s[2:3], v[36:37]
	v_add_f64 v[0:1], v[32:33], v[28:29]
	v_fma_f64 v[74:75], v[12:13], s[16:17], v[2:3]
	v_fma_f64 v[68:69], v[4:5], s[2:3], v[14:15]
	v_fma_f64 v[64:65], v[8:9], s[10:11], -v[64:65]
	v_fma_f64 v[72:73], v[10:11], s[6:7], -v[18:19]
	;; [unrolled: 1-line block ×3, first 2 shown]
	v_add_f64 v[2:3], v[26:27], v[38:39]
	v_add_f64 v[4:5], v[30:31], v[22:23]
	;; [unrolled: 1-line block ×5, first 2 shown]
	v_add_f64 v[20:21], v[32:33], -v[28:29]
	v_add_f64 v[24:25], v[30:31], -v[22:23]
	;; [unrolled: 1-line block ×4, first 2 shown]
	v_add_f64 v[12:13], v[54:55], v[70:71]
	v_add_f64 v[14:15], v[62:63], v[64:65]
	;; [unrolled: 1-line block ×4, first 2 shown]
	v_add_f64 v[32:33], v[54:55], -v[70:71]
	v_add_f64 v[36:37], v[34:35], -v[72:73]
	;; [unrolled: 1-line block ×6, first 2 shown]
	global_store_dwordx4 v[40:41], v[0:3], off offset:2720
	global_store_dwordx4 v[42:43], v[4:7], off offset:1888
	;; [unrolled: 1-line block ×7, first 2 shown]
	v_add_co_u32_e32 v0, vcc, 0x6000, v40
	v_addc_co_u32_e32 v1, vcc, 0, v41, vcc
	global_store_dwordx4 v[0:1], v[28:31], off offset:992
	v_add_co_u32_e32 v0, vcc, 0x7000, v40
	v_addc_co_u32_e32 v1, vcc, 0, v41, vcc
	global_store_dwordx4 v[0:1], v[32:35], off offset:160
	global_store_dwordx4 v[0:1], v[36:39], off offset:3424
.LBB0_22:
	s_endpgm
	.section	.rodata,"a",@progbits
	.p2align	6, 0x0
	.amdhsa_kernel fft_rtc_fwd_len2040_factors_17_4_3_10_wgs_170_tpt_170_halfLds_dp_ip_CI_unitstride_sbrr_dirReg
		.amdhsa_group_segment_fixed_size 0
		.amdhsa_private_segment_fixed_size 60
		.amdhsa_kernarg_size 88
		.amdhsa_user_sgpr_count 6
		.amdhsa_user_sgpr_private_segment_buffer 1
		.amdhsa_user_sgpr_dispatch_ptr 0
		.amdhsa_user_sgpr_queue_ptr 0
		.amdhsa_user_sgpr_kernarg_segment_ptr 1
		.amdhsa_user_sgpr_dispatch_id 0
		.amdhsa_user_sgpr_flat_scratch_init 0
		.amdhsa_user_sgpr_private_segment_size 0
		.amdhsa_uses_dynamic_stack 0
		.amdhsa_system_sgpr_private_segment_wavefront_offset 1
		.amdhsa_system_sgpr_workgroup_id_x 1
		.amdhsa_system_sgpr_workgroup_id_y 0
		.amdhsa_system_sgpr_workgroup_id_z 0
		.amdhsa_system_sgpr_workgroup_info 0
		.amdhsa_system_vgpr_workitem_id 0
		.amdhsa_next_free_vgpr 255
		.amdhsa_next_free_sgpr 64
		.amdhsa_reserve_vcc 1
		.amdhsa_reserve_flat_scratch 0
		.amdhsa_float_round_mode_32 0
		.amdhsa_float_round_mode_16_64 0
		.amdhsa_float_denorm_mode_32 3
		.amdhsa_float_denorm_mode_16_64 3
		.amdhsa_dx10_clamp 1
		.amdhsa_ieee_mode 1
		.amdhsa_fp16_overflow 0
		.amdhsa_exception_fp_ieee_invalid_op 0
		.amdhsa_exception_fp_denorm_src 0
		.amdhsa_exception_fp_ieee_div_zero 0
		.amdhsa_exception_fp_ieee_overflow 0
		.amdhsa_exception_fp_ieee_underflow 0
		.amdhsa_exception_fp_ieee_inexact 0
		.amdhsa_exception_int_div_zero 0
	.end_amdhsa_kernel
	.text
.Lfunc_end0:
	.size	fft_rtc_fwd_len2040_factors_17_4_3_10_wgs_170_tpt_170_halfLds_dp_ip_CI_unitstride_sbrr_dirReg, .Lfunc_end0-fft_rtc_fwd_len2040_factors_17_4_3_10_wgs_170_tpt_170_halfLds_dp_ip_CI_unitstride_sbrr_dirReg
                                        ; -- End function
	.section	.AMDGPU.csdata,"",@progbits
; Kernel info:
; codeLenInByte = 15340
; NumSgprs: 68
; NumVgprs: 255
; ScratchSize: 60
; MemoryBound: 1
; FloatMode: 240
; IeeeMode: 1
; LDSByteSize: 0 bytes/workgroup (compile time only)
; SGPRBlocks: 8
; VGPRBlocks: 63
; NumSGPRsForWavesPerEU: 68
; NumVGPRsForWavesPerEU: 255
; Occupancy: 1
; WaveLimiterHint : 1
; COMPUTE_PGM_RSRC2:SCRATCH_EN: 1
; COMPUTE_PGM_RSRC2:USER_SGPR: 6
; COMPUTE_PGM_RSRC2:TRAP_HANDLER: 0
; COMPUTE_PGM_RSRC2:TGID_X_EN: 1
; COMPUTE_PGM_RSRC2:TGID_Y_EN: 0
; COMPUTE_PGM_RSRC2:TGID_Z_EN: 0
; COMPUTE_PGM_RSRC2:TIDIG_COMP_CNT: 0
	.type	__hip_cuid_e96c88d432195697,@object ; @__hip_cuid_e96c88d432195697
	.section	.bss,"aw",@nobits
	.globl	__hip_cuid_e96c88d432195697
__hip_cuid_e96c88d432195697:
	.byte	0                               ; 0x0
	.size	__hip_cuid_e96c88d432195697, 1

	.ident	"AMD clang version 19.0.0git (https://github.com/RadeonOpenCompute/llvm-project roc-6.4.0 25133 c7fe45cf4b819c5991fe208aaa96edf142730f1d)"
	.section	".note.GNU-stack","",@progbits
	.addrsig
	.addrsig_sym __hip_cuid_e96c88d432195697
	.amdgpu_metadata
---
amdhsa.kernels:
  - .args:
      - .actual_access:  read_only
        .address_space:  global
        .offset:         0
        .size:           8
        .value_kind:     global_buffer
      - .offset:         8
        .size:           8
        .value_kind:     by_value
      - .actual_access:  read_only
        .address_space:  global
        .offset:         16
        .size:           8
        .value_kind:     global_buffer
      - .actual_access:  read_only
        .address_space:  global
        .offset:         24
        .size:           8
        .value_kind:     global_buffer
      - .offset:         32
        .size:           8
        .value_kind:     by_value
      - .actual_access:  read_only
        .address_space:  global
        .offset:         40
        .size:           8
        .value_kind:     global_buffer
      - .actual_access:  read_only
        .address_space:  global
        .offset:         48
        .size:           8
        .value_kind:     global_buffer
      - .offset:         56
        .size:           4
        .value_kind:     by_value
      - .actual_access:  read_only
        .address_space:  global
        .offset:         64
        .size:           8
        .value_kind:     global_buffer
      - .actual_access:  read_only
        .address_space:  global
        .offset:         72
        .size:           8
        .value_kind:     global_buffer
      - .address_space:  global
        .offset:         80
        .size:           8
        .value_kind:     global_buffer
    .group_segment_fixed_size: 0
    .kernarg_segment_align: 8
    .kernarg_segment_size: 88
    .language:       OpenCL C
    .language_version:
      - 2
      - 0
    .max_flat_workgroup_size: 170
    .name:           fft_rtc_fwd_len2040_factors_17_4_3_10_wgs_170_tpt_170_halfLds_dp_ip_CI_unitstride_sbrr_dirReg
    .private_segment_fixed_size: 60
    .sgpr_count:     68
    .sgpr_spill_count: 0
    .symbol:         fft_rtc_fwd_len2040_factors_17_4_3_10_wgs_170_tpt_170_halfLds_dp_ip_CI_unitstride_sbrr_dirReg.kd
    .uniform_work_group_size: 1
    .uses_dynamic_stack: false
    .vgpr_count:     255
    .vgpr_spill_count: 14
    .wavefront_size: 64
amdhsa.target:   amdgcn-amd-amdhsa--gfx906
amdhsa.version:
  - 1
  - 2
...

	.end_amdgpu_metadata
